;; amdgpu-corpus repo=ROCm/aiter kind=harvested arch=n/a opt=n/a

/root/src/amdgpu-assembly/repos/ROCm__aiter/hsa/gfx950/mla/mla_a8w8_qh32_qseqlen4_gqaratio32_ps.co:	file format elf64-amdgpu

Disassembly of section .text:

0000000000002300 <_ZN5aiter36mla_a8w8_qh32_qseqlen4_gqaratio32_psE>:
	s_and_b32 s1, s1, 0xffff                                   // 000000002300: 8601FF01 0000FFFF
	s_load_dwordx2 s[28:29], s[0:1], 0xe0                      // 000000002308: C0060700 000000E0
	v_lshrrev_b32_e32 v1, 10, v0                               // 000000002310: 2002008A
	v_lshrrev_b32_e32 v2, 10, v1                               // 000000002314: 2004028A
	v_and_b32_e32 v2, 0x3ff, v2                                // 000000002318: 260404FF 000003FF
	v_and_b32_e32 v1, 0x3ff, v1                                // 000000002320: 260202FF 000003FF
	v_and_b32_e32 v0, 0x3ff, v0                                // 000000002328: 260000FF 000003FF
	v_lshrrev_b32_e32 v3, 6, v0                                // 000000002330: 20060086
	v_and_b32_e32 v0, 63, v0                                   // 000000002334: 260000BF
	s_mov_b32 s2, s2                                           // 000000002338: BE820002
	s_mov_b32 s3, s3                                           // 00000000233C: BE830003
	s_mov_b32 s4, s4                                           // 000000002340: BE840004
	v_readfirstlane_b32 s7, v3                                 // 000000002344: 7E0E0503
	s_waitcnt lgkmcnt(0)                                       // 000000002348: BF8CC07F
	s_and_b32 s29, s29, 0xffff                                 // 00000000234C: 861DFF1D 0000FFFF
	s_load_dwordx2 s[32:33], s[28:29], 0x0                     // 000000002354: C006080E 00000000
	s_load_dwordx2 s[30:31], s[28:29], 0x8                     // 00000000235C: C006078E 00000008
	s_waitcnt lgkmcnt(0)                                       // 000000002364: BF8CC07F
	s_mul_i32 s56, s2, 4                                       // 000000002368: 92388402
	s_and_b32 s33, s33, 0xffff                                 // 00000000236C: 8621FF21 0000FFFF
	s_add_u32 s32, s56, s32                                    // 000000002374: 80202038
	s_addc_u32 s33, 0, s33                                     // 000000002378: 82212180
	s_load_dword s85, s[32:33], 0x0                            // 00000000237C: C0021550 00000000
	s_load_dword s86, s[32:33], 0x4                            // 000000002384: C0021590 00000004
	s_and_b32 s31, s31, 0xffff                                 // 00000000238C: 861FFF1F 0000FFFF
	s_waitcnt lgkmcnt(0)                                       // 000000002394: BF8CC07F
	s_cmp_eq_i32 s85, s86                                      // 000000002398: BF005655
	s_cbranch_scc1 label_10AB4                                 // 00000000239C: BF854203
	s_mul_i32 s56, s85, 32                                     // 0000000023A0: 9238A055

00000000000023a4 <label_00A4>:
	s_waitcnt vmcnt(0) expcnt(0) lgkmcnt(0)                    // 0000000023A4: BF8C0000
	s_barrier                                                  // 0000000023A8: BF8A0000
	s_add_u32 s30, s56, s30                                    // 0000000023AC: 801E1E38
	s_addc_u32 s31, 0, s31                                     // 0000000023B0: 821F1F80
	s_load_dword s66, s[30:31], 0x0                            // 0000000023B4: C002108F 00000000
	s_load_dword s87, s[30:31], 0x4                            // 0000000023BC: C00215CF 00000004
	s_load_dword s78, s[30:31], 0x8                            // 0000000023C4: C002138F 00000008
	s_load_dword s79, s[30:31], 0xc                            // 0000000023CC: C00213CF 0000000C
	s_load_dword s47, s[30:31], 0x10                           // 0000000023D4: C0020BCF 00000010
	s_load_dword s46, s[30:31], 0x14                           // 0000000023DC: C0020B8F 00000014
	s_load_dword s77, s[30:31], 0x18                           // 0000000023E4: C002134F 00000018
	s_load_dwordx2 s[8:9], s[0:1], 0x0                         // 0000000023EC: C0060200 00000000
	s_load_dwordx2 s[12:13], s[0:1], 0x10                      // 0000000023F4: C0060300 00000010
	s_load_dwordx2 s[16:17], s[0:1], 0x20                      // 0000000023FC: C0060400 00000020
	s_load_dwordx2 s[20:21], s[0:1], 0x30                      // 000000002404: C0060500 00000030
	s_load_dwordx2 s[24:25], s[0:1], 0x50                      // 00000000240C: C0060600 00000050
	s_load_dword s64, s[0:1], 0x70                             // 000000002414: C0021000 00000070
	s_load_dword s90, s[0:1], 0x80                             // 00000000241C: C0021680 00000080
	s_load_dword s67, s[0:1], 0x90                             // 000000002424: C00210C0 00000090
	s_load_dword s68, s[0:1], 0xb0                             // 00000000242C: C0021100 000000B0
	s_load_dword s69, s[0:1], 0xc0                             // 000000002434: C0021140 000000C0
	s_load_dwordx2 s[32:33], s[0:1], 0xd0                      // 00000000243C: C0060800 000000D0
	s_load_dwordx2 s[88:89], s[0:1], 0xf0                      // 000000002444: C0061600 000000F0
	s_load_dwordx2 s[40:41], s[0:1], 0x100                     // 00000000244C: C0060A00 00000100
	s_load_dwordx2 s[42:43], s[0:1], 0x110                     // 000000002454: C0060A80 00000110
	s_waitcnt lgkmcnt(0)                                       // 00000000245C: BF8CC07F
	s_mul_i32 s56, s66, 4                                      // 000000002460: 92388442
	s_add_u32 s32, s56, s32                                    // 000000002464: 80202038
	s_addc_u32 s33, 0, s33                                     // 000000002468: 82212180
	s_load_dword s66, s[32:33], 0x4                            // 00000000246C: C0021090 00000004
	s_sub_u32 s81, s79, s78                                    // 000000002474: 80D14E4F
	s_mul_i32 s65, s90, s81                                    // 000000002478: 9241515A
	s_min_u32 s76, 32, s65                                     // 00000000247C: 83CC41A0
	s_mul_i32 s74, 0x240, s65                                  // 000000002480: 924A41FF 00000240
	s_mul_i32 s56, 4, s65                                      // 000000002488: 92384184
	s_mov_b32 s10, s75                                         // 00000000248C: BE8A004B
	s_mov_b32 s18, s74                                         // 000000002490: BE92004A
	s_mov_b32 s14, s56                                         // 000000002494: BE8E0038
	s_mov_b32 s22, -16                                         // 000000002498: BE9600D0
	s_mov_b32 s26, -16                                         // 00000000249C: BE9A00D0
	s_mov_b32 s11, 0x20000                                     // 0000000024A0: BE8B00FF 00020000
	s_mov_b32 s91, 0x20000                                     // 0000000024A8: BEDB00FF 00020000
	s_mov_b32 s19, 0x20000                                     // 0000000024B0: BE9300FF 00020000
	s_mov_b32 s15, 0x20000                                     // 0000000024B8: BE8F00FF 00020000
	s_mov_b32 s23, 0x20000                                     // 0000000024C0: BE9700FF 00020000
	s_mov_b32 s27, 0x20000                                     // 0000000024C8: BE9B00FF 00020000
	s_and_b32 s9, s9, 0xffff                                   // 0000000024D0: 8609FF09 0000FFFF
	s_and_b32 s89, s89, 0xffff                                 // 0000000024D8: 8659FF59 0000FFFF
	s_and_b32 s17, s17, 0xffff                                 // 0000000024E0: 8611FF11 0000FFFF
	s_and_b32 s13, s13, 0xffff                                 // 0000000024E8: 860DFF0D 0000FFFF
	s_and_b32 s21, s21, 0xffff                                 // 0000000024F0: 8615FF15 0000FFFF
	s_and_b32 s25, s25, 0xffff                                 // 0000000024F8: 8619FF19 0000FFFF
	s_and_b32 s41, s41, 0xffff                                 // 000000002500: 8629FF29 0000FFFF
	s_and_b32 s43, s43, 0xffff                                 // 000000002508: 862BFF2B 0000FFFF
	s_or_b32 s9, s9, 0x40000                                   // 000000002510: 8709FF09 00040000
	s_or_b32 s89, s89, 0x40000                                 // 000000002518: 8759FF59 00040000
	s_or_b32 s17, s17, 0x40000                                 // 000000002520: 8711FF11 00040000
	s_or_b32 s13, s13, 0x40000                                 // 000000002528: 870DFF0D 00040000
	s_or_b32 s21, s21, 0x40000                                 // 000000002530: 8715FF15 00040000
	s_or_b32 s25, s25, 0x40000                                 // 000000002538: 8719FF19 00040000
	s_mov_b32 s67, 1                                           // 000000002540: BEC30081
	s_mov_b32 s80, 0                                           // 000000002544: BED00080
	s_waitcnt lgkmcnt(0)                                       // 000000002548: BF8CC07F
	s_load_dword s60, s[40:41], 0x0                            // 00000000254C: C0020F14 00000000
	s_load_dword s61, s[42:43], 0x0                            // 000000002554: C0020F55 00000000
	s_mov_b32 s69, 0                                           // 00000000255C: BEC50080
	s_lshr_b32 s44, 64, s69                                    // 000000002560: 8F2C45C0
	s_mul_i32 s73, s44, 4                                      // 000000002564: 9249842C
	s_mul_i32 s73, s73, s67                                    // 000000002568: 92494349
	s_mul_i32 s45, s4, s44                                     // 00000000256C: 922D2C04
	s_sub_u32 s50, s46, s47                                    // 000000002570: 80B22F2E
	s_sub_i32 s82, s50, s66                                    // 000000002574: 81D24232
	s_add_u32 s82, s78, s82                                    // 000000002578: 8052524E
	s_add_u32 s82, s77, s82                                    // 00000000257C: 8052524D
	s_mov_b32 s83, 63                                          // 000000002580: BED300BF
	s_add_u32 s83, s83, s45                                    // 000000002584: 80532D53
	s_mul_i32 s84, s67, 64                                     // 000000002588: 9254C043
	s_cmp_le_u32 s50, s45                                      // 00000000258C: BF0B2D32
	s_cbranch_scc1 label_10AB4                                 // 000000002590: BF854186
	s_mul_i32 s56, s50, 4                                      // 000000002594: 92388432
	s_mov_b32 s26, s56                                         // 000000002598: BE9A0038
	s_mul_i32 s56, s47, 4                                      // 00000000259C: 9238842F
	s_add_u32 s24, s56, s24                                    // 0000000025A0: 80181838
	s_addc_u32 s25, 0, s25                                     // 0000000025A4: 82191980
	s_mov_b32 s70, 0                                           // 0000000025A8: BEC60080
	s_sub_u32 s71, s50, s45                                    // 0000000025AC: 80C72D32
	s_mul_i32 s37, s67, s44                                    // 0000000025B0: 92252C43
	s_mov_b32 s36, s71                                         // 0000000025B4: BEA40047
	v_cvt_f32_u32_e32 v28, s37                                 // 0000000025B8: 7E380C25
	s_sub_i32 s56, 0, s37                                      // 0000000025BC: 81B82580
	v_rcp_iflag_f32_e32 v28, v28                               // 0000000025C0: 7E38471C
	s_nop 0                                                    // 0000000025C4: BF800000
	v_mul_f32_e32 v28, 0x4f7ffffe, v28                         // 0000000025C8: 0A3838FF 4F7FFFFE
	v_cvt_u32_f32_e32 v28, v28                                 // 0000000025D0: 7E380F1C
	v_mul_lo_u32 v29, s56, v28                                 // 0000000025D4: D285001D 00023838
	v_mul_hi_u32 v29, v28, v29                                 // 0000000025DC: D286001D 00023B1C
	v_add_u32_e32 v28, v28, v29                                // 0000000025E4: 68383B1C
	v_mul_hi_u32 v28, s36, v28                                 // 0000000025E8: D286001C 00023824
	v_mul_lo_u32 v29, v28, s37                                 // 0000000025F0: D285001D 00004B1C
	v_sub_u32_e32 v31, s36, v29                                // 0000000025F8: 6A3E3A24
	v_add_u32_e32 v30, 1, v28                                  // 0000000025FC: 683C3881
	v_cmp_le_u32_e32 vcc, s37, v31                             // 000000002600: 7D963E25
	v_subrev_u32_e32 v29, s37, v31                             // 000000002604: 6C3A3E25
	s_nop 0                                                    // 000000002608: BF800000
	v_cndmask_b32_e32 v28, v28, v30, vcc                       // 00000000260C: 00383D1C
	v_cndmask_b32_e32 v31, v31, v29, vcc                       // 000000002610: 003E3B1F
	v_add_u32_e32 v29, 1, v28                                  // 000000002614: 683A3881
	v_cmp_le_u32_e32 vcc, s37, v31                             // 000000002618: 7D963E25
	s_nop 1                                                    // 00000000261C: BF800001
	v_cndmask_b32_e32 v31, v28, v29, vcc                       // 000000002620: 003E3B1C
	s_nop 3                                                    // 000000002624: BF800003
	v_readfirstlane_b32 s38, v31                               // 000000002628: 7E4C051F
	s_nop 3                                                    // 00000000262C: BF800003
	s_mov_b32 s71, s38                                         // 000000002630: BEC70026
	s_mul_i32 s56, s71, s37                                    // 000000002634: 92382547
	s_sub_u32 s56, s36, s56                                    // 000000002638: 80B83824
	s_mov_b32 s57, 0                                           // 00000000263C: BEB90080
	s_cmp_lt_u32 s56, s44                                      // 000000002640: BF0A2C38
	s_cselect_b32 s57, s57, 1                                  // 000000002644: 85398139
	s_add_u32 s71, s57, s71                                    // 000000002648: 80474739
	s_cmpk_eq_u32 s57, 0x1                                     // 00000000264C: B4390001
	s_cselect_b32 s49, 0, s56                                  // 000000002650: 85313880
	s_mov_b32 s48, s49                                         // 000000002654: BEB00031
	v_lshrrev_b32_e32 v28, 2, v0                               // 000000002658: 20380082
	s_mul_i32 s56, s7, 16                                      // 00000000265C: 92389007
	v_add_u32_e64 v27, v28, s56                                // 000000002660: D134001B 0000711C
	v_add_u32_e32 v27, s45, v27                                // 000000002668: 6836362D
	v_lshlrev_b32_e32 v27, 2, v27                              // 00000000266C: 24363682
	buffer_load_dword v24, v27, s[24:27], 0 offen              // 000000002670: E0501000 8006181B
	v_add_u32_e32 v27, s73, v27                                // 000000002678: 68363649
	buffer_load_dword v25, v27, s[24:27], 0 offen              // 00000000267C: E0501000 8006191B
	v_add_u32_e32 v27, s73, v27                                // 000000002684: 68363649
	s_mul_i32 s56, 0x240, s90                                  // 000000002688: 92385AFF 00000240
	s_mul_i32 s57, s78, s56                                    // 000000002690: 9239384E
	s_add_u32 s16, s57, s16                                    // 000000002694: 80101039
	s_addc_u32 s17, 0, s17                                     // 000000002698: 82111180
	s_mul_i32 s57, s56, s81                                    // 00000000269C: 92395138
	s_mov_b32 s18, s57                                         // 0000000026A0: BE920039
	s_mul_i32 s56, s7, 0x400                                   // 0000000026A4: 9238FF07 00000400
	s_add_u32 m0, 0x2000, s56                                  // 0000000026AC: 807C38FF 00002000
	v_and_b32_e32 v28, 3, v0                                   // 0000000026B4: 26380083
	v_mov_b32_e32 v29, 0                                       // 0000000026B8: 7E3A0280
	s_mov_b32 s56, 0                                           // 0000000026BC: BEB80080
	s_mov_b32 s57, -1                                          // 0000000026C0: BEB900C1
	v_cndmask_b32_e64 v30, v29, v28, s[56:57]                  // 0000000026C4: D100001E 00E2391D
	s_nop 2                                                    // 0000000026CC: BF800002
	v_mov_b32_dpp v30, v30 quad_perm:[2,3,0,1] row_mask:0xf bank_mask:0xf// 0000000026D0: 7E3C02FA FF004E1E
	v_cndmask_b32_e64 v31, v28, v30, s[56:57]                  // 0000000026D8: D100001F 00E23D1C
	v_lshlrev_b32_e32 v31, 4, v31                              // 0000000026E0: 243E3E84
	v_mov_b32_e32 v1, v31                                      // 0000000026E4: 7E02031F
	v_lshrrev_b32_e32 v28, 2, v0                               // 0000000026E8: 20380082
	s_mov_b32 s56, 0x240                                       // 0000000026EC: BEB800FF 00000240
	v_mul_i32_i24_e64 v28, v28, s56                            // 0000000026F4: D106001C 0000711C
	s_mul_i32 s56, s7, 64                                      // 0000000026FC: 9238C007
	v_add_u32_e32 v29, v28, v31                                // 000000002700: 683A3F1C
	v_add_u32_e64 v29, v29, s56                                // 000000002704: D134001D 0000711D
	buffer_load_dwordx4 v29, s[16:19], 0 offen lds             // 00000000270C: E05D1000 8004001D
	s_add_u32 m0, m0, 0x1000                                   // 000000002714: 807CFF7C 00001000
	v_add_u32_e32 v29, 0x100, v29                              // 00000000271C: 683A3AFF 00000100
	buffer_load_dwordx4 v29, s[16:19], 0 offen lds             // 000000002724: E05D1000 8004001D
	s_add_u32 m0, m0, 0x1000                                   // 00000000272C: 807CFF7C 00001000
	v_add_u32_e32 v29, 0x100, v29                              // 000000002734: 683A3AFF 00000100
	buffer_load_dwordx4 v29, s[16:19], 0 offen lds             // 00000000273C: E05D1000 8004001D
	s_add_u32 m0, m0, 0x1000                                   // 000000002744: 807CFF7C 00001000
	v_add_u32_e32 v29, 0x100, v29                              // 00000000274C: 683A3AFF 00000100
	v_add_u32_e32 v29, 0x2100, v29                             // 000000002754: 683A3AFF 00002100
	buffer_load_dwordx4 v29, s[16:19], 0 offen lds             // 00000000275C: E05D1000 8004001D
	s_add_u32 m0, m0, 0x1000                                   // 000000002764: 807CFF7C 00001000
	v_add_u32_e32 v29, 0x100, v29                              // 00000000276C: 683A3AFF 00000100
	buffer_load_dwordx4 v29, s[16:19], 0 offen lds             // 000000002774: E05D1000 8004001D
	s_add_u32 m0, m0, 0x1000                                   // 00000000277C: 807CFF7C 00001000
	v_add_u32_e32 v29, 0x100, v29                              // 000000002784: 683A3AFF 00000100
	buffer_load_dwordx4 v29, s[16:19], 0 offen lds             // 00000000278C: E05D1000 8004001D
	s_add_u32 m0, m0, 0x1000                                   // 000000002794: 807CFF7C 00001000
	v_add_u32_e32 v29, 0x100, v29                              // 00000000279C: 683A3AFF 00000100
	v_add_u32_e32 v29, 0x2100, v29                             // 0000000027A4: 683A3AFF 00002100
	buffer_load_dwordx4 v29, s[16:19], 0 offen lds             // 0000000027AC: E05D1000 8004001D
	s_add_u32 m0, m0, 0x1000                                   // 0000000027B4: 807CFF7C 00001000
	v_add_u32_e32 v29, 0x100, v29                              // 0000000027BC: 683A3AFF 00000100
	buffer_load_dwordx4 v29, s[16:19], 0 offen lds             // 0000000027C4: E05D1000 8004001D
	s_add_u32 m0, m0, 0x1000                                   // 0000000027CC: 807CFF7C 00001000
	v_add_u32_e32 v29, 0x100, v29                              // 0000000027D4: 683A3AFF 00000100
	buffer_load_dwordx4 v29, s[16:19], 0 offen lds             // 0000000027DC: E05D1000 8004001D
	s_add_u32 m0, m0, 0x1000                                   // 0000000027E4: 807CFF7C 00001000
	v_add_u32_e32 v29, 0x100, v29                              // 0000000027EC: 683A3AFF 00000100
	v_add_u32_e32 v29, 0x2100, v29                             // 0000000027F4: 683A3AFF 00002100
	buffer_load_dwordx4 v29, s[16:19], 0 offen lds             // 0000000027FC: E05D1000 8004001D
	s_add_u32 m0, m0, 0x1000                                   // 000000002804: 807CFF7C 00001000
	v_add_u32_e32 v29, 0x100, v29                              // 00000000280C: 683A3AFF 00000100
	buffer_load_dwordx4 v29, s[16:19], 0 offen lds             // 000000002814: E05D1000 8004001D
	s_add_u32 m0, m0, 0x1000                                   // 00000000281C: 807CFF7C 00001000
	v_add_u32_e32 v29, 0x100, v29                              // 000000002824: 683A3AFF 00000100
	buffer_load_dwordx4 v29, s[16:19], 0 offen lds             // 00000000282C: E05D1000 8004001D
	s_add_u32 m0, m0, 0x1000                                   // 000000002834: 807CFF7C 00001000
	v_add_u32_e32 v29, 0x100, v29                              // 00000000283C: 683A3AFF 00000100
	v_add_u32_e32 v29, 0x2100, v29                             // 000000002844: 683A3AFF 00002100
	buffer_load_dwordx4 v29, s[16:19], 0 offen lds             // 00000000284C: E05D1000 8004001D
	s_add_u32 m0, m0, 0x1000                                   // 000000002854: 807CFF7C 00001000
	v_add_u32_e32 v29, 0x100, v29                              // 00000000285C: 683A3AFF 00000100
	buffer_load_dwordx4 v29, s[16:19], 0 offen lds             // 000000002864: E05D1000 8004001D
	s_add_u32 m0, m0, 0x1000                                   // 00000000286C: 807CFF7C 00001000
	v_add_u32_e32 v29, 0x100, v29                              // 000000002874: 683A3AFF 00000100
	buffer_load_dwordx4 v29, s[16:19], 0 offen lds             // 00000000287C: E05D1000 8004001D
	s_add_u32 m0, m0, 0x1000                                   // 000000002884: 807CFF7C 00001000
	v_add_u32_e32 v29, 0x100, v29                              // 00000000288C: 683A3AFF 00000100
	v_add_u32_e32 v29, 0x2100, v29                             // 000000002894: 683A3AFF 00002100
	buffer_load_dwordx4 v29, s[16:19], 0 offen lds             // 00000000289C: E05D1000 8004001D
	s_add_u32 m0, m0, 0x1000                                   // 0000000028A4: 807CFF7C 00001000
	v_add_u32_e32 v29, 0x100, v29                              // 0000000028AC: 683A3AFF 00000100
	buffer_load_dwordx4 v29, s[16:19], 0 offen lds             // 0000000028B4: E05D1000 8004001D
	s_add_u32 m0, m0, 0x1000                                   // 0000000028BC: 807CFF7C 00001000
	v_add_u32_e32 v29, 0x100, v29                              // 0000000028C4: 683A3AFF 00000100
	buffer_load_dwordx4 v29, s[16:19], 0 offen lds             // 0000000028CC: E05D1000 8004001D
	s_add_u32 m0, m0, 0x1000                                   // 0000000028D4: 807CFF7C 00001000
	v_add_u32_e32 v29, 0x100, v29                              // 0000000028DC: 683A3AFF 00000100
	v_add_u32_e32 v29, 0x2100, v29                             // 0000000028E4: 683A3AFF 00002100
	buffer_load_dwordx4 v29, s[16:19], 0 offen lds             // 0000000028EC: E05D1000 8004001D
	s_add_u32 m0, m0, 0x1000                                   // 0000000028F4: 807CFF7C 00001000
	v_add_u32_e32 v29, 0x100, v29                              // 0000000028FC: 683A3AFF 00000100
	buffer_load_dwordx4 v29, s[16:19], 0 offen lds             // 000000002904: E05D1000 8004001D
	s_add_u32 m0, m0, 0x1000                                   // 00000000290C: 807CFF7C 00001000
	v_add_u32_e32 v29, 0x100, v29                              // 000000002914: 683A3AFF 00000100
	buffer_load_dwordx4 v29, s[16:19], 0 offen lds             // 00000000291C: E05D1000 8004001D
	s_add_u32 m0, m0, 0x1000                                   // 000000002924: 807CFF7C 00001000
	v_add_u32_e32 v29, 0x100, v29                              // 00000000292C: 683A3AFF 00000100
	v_add_u32_e32 v29, 0x2100, v29                             // 000000002934: 683A3AFF 00002100
	buffer_load_dwordx4 v29, s[16:19], 0 offen lds             // 00000000293C: E05D1000 8004001D
	s_add_u32 m0, m0, 0x1000                                   // 000000002944: 807CFF7C 00001000
	v_add_u32_e32 v29, 0x100, v29                              // 00000000294C: 683A3AFF 00000100
	buffer_load_dwordx4 v29, s[16:19], 0 offen lds             // 000000002954: E05D1000 8004001D
	s_add_u32 m0, m0, 0x1000                                   // 00000000295C: 807CFF7C 00001000
	v_add_u32_e32 v29, 0x100, v29                              // 000000002964: 683A3AFF 00000100
	buffer_load_dwordx4 v29, s[16:19], 0 offen lds             // 00000000296C: E05D1000 8004001D
	s_add_u32 m0, m0, 0x1000                                   // 000000002974: 807CFF7C 00001000
	v_add_u32_e32 v29, 0x100, v29                              // 00000000297C: 683A3AFF 00000100
	v_add_u32_e32 v29, 0x2100, v29                             // 000000002984: 683A3AFF 00002100
	s_mov_b32 s52, 0x7060302                                   // 00000000298C: BEB400FF 07060302
	s_mov_b32 s53, 0x5040100                                   // 000000002994: BEB500FF 05040100
	s_mul_i32 s51, s7, 4                                       // 00000000299C: 92338407
	s_mov_b32 s6, 0x3fb8aa3b                                   // 0000000029A0: BE8600FF 3FB8AA3B
	v_mov_b32_e32 v29, s6                                      // 0000000029A8: 7E3A0206
	v_mov_b32_e32 v28, s64                                     // 0000000029AC: 7E380240
	v_mul_f32_e32 v28, s6, v28                                 // 0000000029B0: 0A383806
	v_rcp_f32_e32 v29, v29                                     // 0000000029B4: 7E3A451D
	v_mov_b32_e32 v2, 0xff800000                               // 0000000029B8: 7E0402FF FF800000
	v_mov_b32_e32 v17, 0                                       // 0000000029C0: 7E220280
	v_mov_b32_e32 v4, 0                                        // 0000000029C4: 7E080280
	v_readfirstlane_b32 s5, v28                                // 0000000029C8: 7E0A051C
	v_readfirstlane_b32 s63, v29                               // 0000000029CC: 7E7E051D
	s_waitcnt lgkmcnt(0)                                       // 0000000029D0: BF8CC07F
	v_mov_b32_e32 v28, s60                                     // 0000000029D4: 7E38023C
	v_mul_f32_e32 v28, s61, v28                                // 0000000029D8: 0A38383D
	v_mul_f32_e32 v29, s5, v28                                 // 0000000029DC: 0A3A3805
	v_mul_f32_e32 v31, s64, v28                                // 0000000029E0: 0A3E3840
	v_readfirstlane_b32 s5, v29                                // 0000000029E4: 7E0A051D
	v_readfirstlane_b32 s64, v31                               // 0000000029E8: 7E80051F
	v_and_b32_e32 v28, 15, v0                                  // 0000000029EC: 2638008F
	v_lshlrev_b32_e32 v28, 4, v28                              // 0000000029F0: 24383884
	v_and_b32_e32 v29, 31, v0                                  // 0000000029F4: 263A009F
	v_lshrrev_b32_e32 v29, 4, v29                              // 0000000029F8: 203A3A84
	s_mov_b32 s56, 0xc00                                       // 0000000029FC: BEB800FF 00000C00
	v_mul_i32_i24_e32 v29, s56, v29                            // 000000002A04: 0C3A3A38
	v_add_u32_e32 v9, v28, v29                                 // 000000002A08: 68123B1C
	v_mov_b32_e32 v10, v9                                      // 000000002A0C: 7E140309
	v_and_b32_e32 v28, 15, v0                                  // 000000002A10: 2638008F
	v_lshrrev_b32_e32 v28, 3, v28                              // 000000002A14: 20383883
	v_lshlrev_b32_e32 v28, 3, v28                              // 000000002A18: 24383883
	v_lshrrev_b32_e32 v29, 5, v0                               // 000000002A1C: 203A0085
	v_lshlrev_b32_e32 v29, 2, v29                              // 000000002A20: 243A3A82
	v_add_u32_e32 v9, v9, v28                                  // 000000002A24: 68123909
	v_add_u32_e32 v9, v9, v29                                  // 000000002A28: 68123B09
	v_and_b32_e32 v28, 15, v0                                  // 000000002A2C: 2638008F
	v_lshrrev_b32_e32 v28, 3, v28                              // 000000002A30: 20383883
	s_mov_b32 s56, 1                                           // 000000002A34: BEB80081
	v_mov_b32_e32 v29, s56                                     // 000000002A38: 7E3A0238
	v_xor_b32_e32 v28, v29, v28                                // 000000002A3C: 2A38391D
	v_lshlrev_b32_e32 v28, 3, v28                              // 000000002A40: 24383883
	v_lshrrev_b32_e32 v29, 5, v0                               // 000000002A44: 203A0085
	v_lshlrev_b32_e32 v29, 2, v29                              // 000000002A48: 243A3A82
	v_add_u32_e32 v10, v10, v28                                // 000000002A4C: 6814390A
	v_add_u32_e32 v10, v10, v29                                // 000000002A50: 68143B0A
	s_mov_b32 s56, 0                                           // 000000002A54: BEB80080
	v_lshlrev_b32_e32 v9, 2, v9                                // 000000002A58: 24121282
	v_lshlrev_b32_e32 v10, 2, v10                              // 000000002A5C: 24141482
	s_mul_i32 s56, s7, 0x6000                                  // 000000002A60: 9238FF07 00006000
	v_add_u32_e32 v9, s56, v9                                  // 000000002A68: 68121238
	v_add_u32_e32 v10, s56, v10                                // 000000002A6C: 68141438
	s_waitcnt vmcnt(0)                                         // 000000002A70: BF8C0F70
	s_barrier                                                  // 000000002A74: BF8A0000
	ds_read_b128 a[0:3], v9 offset:8192                        // 000000002A78: DBFE2000 00000009
	ds_read_b128 a[8:11], v9 offset:9216                       // 000000002A80: DBFE2400 08000009
	ds_read_b128 a[16:19], v9 offset:10240                     // 000000002A88: DBFE2800 10000009
	ds_read_b128 a[24:27], v9 offset:11264                     // 000000002A90: DBFE2C00 18000009
	ds_read_b128 a[32:35], v9 offset:12288                     // 000000002A98: DBFE3000 20000009
	ds_read_b128 a[40:43], v9 offset:13312                     // 000000002AA0: DBFE3400 28000009
	ds_read_b128 a[48:51], v9 offset:14336                     // 000000002AA8: DBFE3800 30000009
	ds_read_b128 a[56:59], v9 offset:15360                     // 000000002AB0: DBFE3C00 38000009
	ds_read_b128 a[64:67], v9 offset:16384                     // 000000002AB8: DBFE4000 40000009
	ds_read_b128 a[4:7], v10 offset:8192                       // 000000002AC0: DBFE2000 0400000A
	ds_read_b128 a[12:15], v10 offset:9216                     // 000000002AC8: DBFE2400 0C00000A
	ds_read_b128 a[20:23], v10 offset:10240                    // 000000002AD0: DBFE2800 1400000A
	ds_read_b128 a[28:31], v10 offset:11264                    // 000000002AD8: DBFE2C00 1C00000A
	ds_read_b128 a[36:39], v10 offset:12288                    // 000000002AE0: DBFE3000 2400000A
	ds_read_b128 a[44:47], v10 offset:13312                    // 000000002AE8: DBFE3400 2C00000A
	ds_read_b128 a[52:55], v10 offset:14336                    // 000000002AF0: DBFE3800 3400000A
	ds_read_b128 a[60:63], v10 offset:15360                    // 000000002AF8: DBFE3C00 3C00000A
	ds_read_b128 a[68:71], v10 offset:16384                    // 000000002B00: DBFE4000 4400000A
	v_mov_b32_e32 v192, 0                                      // 000000002B08: 7F800280
	v_mov_b32_e32 v193, 0                                      // 000000002B0C: 7F820280
	v_mov_b32_e32 v194, 0                                      // 000000002B10: 7F840280
	v_mov_b32_e32 v195, 0                                      // 000000002B14: 7F860280
	v_mov_b32_e32 v196, 0                                      // 000000002B18: 7F880280
	v_mov_b32_e32 v197, 0                                      // 000000002B1C: 7F8A0280
	v_mov_b32_e32 v198, 0                                      // 000000002B20: 7F8C0280
	v_mov_b32_e32 v199, 0                                      // 000000002B24: 7F8E0280
	v_mov_b32_e32 v200, 0                                      // 000000002B28: 7F900280
	v_mov_b32_e32 v201, 0                                      // 000000002B2C: 7F920280
	v_mov_b32_e32 v202, 0                                      // 000000002B30: 7F940280
	v_mov_b32_e32 v203, 0                                      // 000000002B34: 7F960280
	v_mov_b32_e32 v204, 0                                      // 000000002B38: 7F980280
	v_mov_b32_e32 v205, 0                                      // 000000002B3C: 7F9A0280
	v_mov_b32_e32 v206, 0                                      // 000000002B40: 7F9C0280
	v_mov_b32_e32 v207, 0                                      // 000000002B44: 7F9E0280
	v_mov_b32_e32 v208, 0                                      // 000000002B48: 7FA00280
	v_mov_b32_e32 v209, 0                                      // 000000002B4C: 7FA20280
	v_mov_b32_e32 v210, 0                                      // 000000002B50: 7FA40280
	v_mov_b32_e32 v211, 0                                      // 000000002B54: 7FA60280
	v_mov_b32_e32 v212, 0                                      // 000000002B58: 7FA80280
	v_mov_b32_e32 v213, 0                                      // 000000002B5C: 7FAA0280
	v_mov_b32_e32 v214, 0                                      // 000000002B60: 7FAC0280
	v_mov_b32_e32 v215, 0                                      // 000000002B64: 7FAE0280
	v_mov_b32_e32 v216, 0                                      // 000000002B68: 7FB00280
	v_mov_b32_e32 v217, 0                                      // 000000002B6C: 7FB20280
	v_mov_b32_e32 v218, 0                                      // 000000002B70: 7FB40280
	v_mov_b32_e32 v219, 0                                      // 000000002B74: 7FB60280
	v_mov_b32_e32 v220, 0                                      // 000000002B78: 7FB80280
	v_mov_b32_e32 v221, 0                                      // 000000002B7C: 7FBA0280
	v_mov_b32_e32 v222, 0                                      // 000000002B80: 7FBC0280
	v_mov_b32_e32 v223, 0                                      // 000000002B84: 7FBE0280
	s_waitcnt lgkmcnt(0)                                       // 000000002B88: BF8CC07F
	v_mul_u32_u24_e64 v31, v24, s68                            // 000000002B8C: D108001F 00008918
	v_add_u32_e32 v31, v31, v1                                 // 000000002B94: 683E031F
	s_mov_b32 s56, 0x14000                                     // 000000002B98: BEB800FF 00014000
	s_mul_i32 s57, s7, 0x2400                                  // 000000002BA0: 9239FF07 00002400
	s_add_u32 m0, s56, s57                                     // 000000002BA8: 807C3938
	buffer_load_dwordx4 v31, s[20:23], 0 offen lds             // 000000002BAC: E05D1000 8005001F
	s_add_i32 m0, m0, 0x3c0                                    // 000000002BB4: 817CFF7C 000003C0
	buffer_load_dwordx4 v31, s[20:23], 0 offen offset:64 lds   // 000000002BBC: E05D1040 8005001F
	s_add_i32 m0, m0, 0x3c0                                    // 000000002BC4: 817CFF7C 000003C0
	buffer_load_dwordx4 v31, s[20:23], 0 offen offset:128 lds  // 000000002BCC: E05D1080 8005001F
	s_add_i32 m0, m0, 0x3c0                                    // 000000002BD4: 817CFF7C 000003C0
	buffer_load_dwordx4 v31, s[20:23], 0 offen offset:192 lds  // 000000002BDC: E05D10C0 8005001F
	s_add_i32 m0, m0, 0x3c0                                    // 000000002BE4: 817CFF7C 000003C0
	buffer_load_dwordx4 v31, s[20:23], 0 offen offset:256 lds  // 000000002BEC: E05D1100 8005001F
	s_add_i32 m0, m0, 0x3c0                                    // 000000002BF4: 817CFF7C 000003C0
	buffer_load_dwordx4 v31, s[20:23], 0 offen offset:320 lds  // 000000002BFC: E05D1140 8005001F
	s_add_i32 m0, m0, 0x3c0                                    // 000000002C04: 817CFF7C 000003C0
	buffer_load_dwordx4 v31, s[20:23], 0 offen offset:384 lds  // 000000002C0C: E05D1180 8005001F
	s_add_i32 m0, m0, 0x3c0                                    // 000000002C14: 817CFF7C 000003C0
	buffer_load_dwordx4 v31, s[20:23], 0 offen offset:448 lds  // 000000002C1C: E05D11C0 8005001F
	s_add_i32 m0, m0, 0x3c0                                    // 000000002C24: 817CFF7C 000003C0
	buffer_load_dwordx4 v31, s[20:23], 0 offen offset:512 lds  // 000000002C2C: E05D1200 8005001F
	s_add_i32 m0, m0, 0x3c0                                    // 000000002C34: 817CFF7C 000003C0
	buffer_load_dword v26, v27, s[24:27], 0 offen              // 000000002C3C: E0501000 80061A1B
	v_add_u32_e32 v27, s73, v27                                // 000000002C44: 68363649
	v_mov_b32_e32 v64, 0                                       // 000000002C48: 7E800280
	v_mov_b32_e32 v65, 0                                       // 000000002C4C: 7E820280
	v_mov_b32_e32 v66, 0                                       // 000000002C50: 7E840280
	v_mov_b32_e32 v67, 0                                       // 000000002C54: 7E860280
	v_mov_b32_e32 v68, 0                                       // 000000002C58: 7E880280
	v_mov_b32_e32 v69, 0                                       // 000000002C5C: 7E8A0280
	v_mov_b32_e32 v70, 0                                       // 000000002C60: 7E8C0280
	v_mov_b32_e32 v71, 0                                       // 000000002C64: 7E8E0280
	v_mov_b32_e32 v72, 0                                       // 000000002C68: 7E900280
	v_mov_b32_e32 v73, 0                                       // 000000002C6C: 7E920280
	v_mov_b32_e32 v74, 0                                       // 000000002C70: 7E940280
	v_mov_b32_e32 v75, 0                                       // 000000002C74: 7E960280
	v_mov_b32_e32 v76, 0                                       // 000000002C78: 7E980280
	v_mov_b32_e32 v77, 0                                       // 000000002C7C: 7E9A0280
	v_mov_b32_e32 v78, 0                                       // 000000002C80: 7E9C0280
	v_mov_b32_e32 v79, 0                                       // 000000002C84: 7E9E0280
	v_mov_b32_e32 v80, 0                                       // 000000002C88: 7EA00280
	v_mov_b32_e32 v81, 0                                       // 000000002C8C: 7EA20280
	v_mov_b32_e32 v82, 0                                       // 000000002C90: 7EA40280
	v_mov_b32_e32 v83, 0                                       // 000000002C94: 7EA60280
	v_mov_b32_e32 v84, 0                                       // 000000002C98: 7EA80280
	v_mov_b32_e32 v85, 0                                       // 000000002C9C: 7EAA0280
	v_mov_b32_e32 v86, 0                                       // 000000002CA0: 7EAC0280
	v_mov_b32_e32 v87, 0                                       // 000000002CA4: 7EAE0280
	v_mov_b32_e32 v88, 0                                       // 000000002CA8: 7EB00280
	v_mov_b32_e32 v89, 0                                       // 000000002CAC: 7EB20280
	v_mov_b32_e32 v90, 0                                       // 000000002CB0: 7EB40280
	v_mov_b32_e32 v91, 0                                       // 000000002CB4: 7EB60280
	v_mov_b32_e32 v92, 0                                       // 000000002CB8: 7EB80280
	v_mov_b32_e32 v93, 0                                       // 000000002CBC: 7EBA0280
	v_mov_b32_e32 v94, 0                                       // 000000002CC0: 7EBC0280
	v_mov_b32_e32 v95, 0                                       // 000000002CC4: 7EBE0280
	v_mov_b32_e32 v96, 0                                       // 000000002CC8: 7EC00280
	v_mov_b32_e32 v97, 0                                       // 000000002CCC: 7EC20280
	v_mov_b32_e32 v98, 0                                       // 000000002CD0: 7EC40280
	v_mov_b32_e32 v99, 0                                       // 000000002CD4: 7EC60280
	v_mov_b32_e32 v100, 0                                      // 000000002CD8: 7EC80280
	v_mov_b32_e32 v101, 0                                      // 000000002CDC: 7ECA0280
	v_mov_b32_e32 v102, 0                                      // 000000002CE0: 7ECC0280
	v_mov_b32_e32 v103, 0                                      // 000000002CE4: 7ECE0280
	v_mov_b32_e32 v104, 0                                      // 000000002CE8: 7ED00280
	v_mov_b32_e32 v105, 0                                      // 000000002CEC: 7ED20280
	v_mov_b32_e32 v106, 0                                      // 000000002CF0: 7ED40280
	v_mov_b32_e32 v107, 0                                      // 000000002CF4: 7ED60280
	v_mov_b32_e32 v108, 0                                      // 000000002CF8: 7ED80280
	v_mov_b32_e32 v109, 0                                      // 000000002CFC: 7EDA0280
	v_mov_b32_e32 v110, 0                                      // 000000002D00: 7EDC0280
	v_mov_b32_e32 v111, 0                                      // 000000002D04: 7EDE0280
	v_mov_b32_e32 v112, 0                                      // 000000002D08: 7EE00280
	v_mov_b32_e32 v113, 0                                      // 000000002D0C: 7EE20280
	v_mov_b32_e32 v114, 0                                      // 000000002D10: 7EE40280
	v_mov_b32_e32 v115, 0                                      // 000000002D14: 7EE60280
	v_mov_b32_e32 v116, 0                                      // 000000002D18: 7EE80280
	v_mov_b32_e32 v117, 0                                      // 000000002D1C: 7EEA0280
	v_mov_b32_e32 v118, 0                                      // 000000002D20: 7EEC0280
	v_mov_b32_e32 v119, 0                                      // 000000002D24: 7EEE0280
	v_mov_b32_e32 v120, 0                                      // 000000002D28: 7EF00280
	v_mov_b32_e32 v121, 0                                      // 000000002D2C: 7EF20280
	v_mov_b32_e32 v122, 0                                      // 000000002D30: 7EF40280
	v_mov_b32_e32 v123, 0                                      // 000000002D34: 7EF60280
	v_mov_b32_e32 v124, 0                                      // 000000002D38: 7EF80280
	v_mov_b32_e32 v125, 0                                      // 000000002D3C: 7EFA0280
	v_mov_b32_e32 v126, 0                                      // 000000002D40: 7EFC0280
	v_mov_b32_e32 v127, 0                                      // 000000002D44: 7EFE0280
	v_mov_b32_e32 v128, 0                                      // 000000002D48: 7F000280
	v_mov_b32_e32 v129, 0                                      // 000000002D4C: 7F020280
	v_mov_b32_e32 v130, 0                                      // 000000002D50: 7F040280
	v_mov_b32_e32 v131, 0                                      // 000000002D54: 7F060280
	v_mov_b32_e32 v132, 0                                      // 000000002D58: 7F080280
	v_mov_b32_e32 v133, 0                                      // 000000002D5C: 7F0A0280
	v_mov_b32_e32 v134, 0                                      // 000000002D60: 7F0C0280
	v_mov_b32_e32 v135, 0                                      // 000000002D64: 7F0E0280
	v_mov_b32_e32 v136, 0                                      // 000000002D68: 7F100280
	v_mov_b32_e32 v137, 0                                      // 000000002D6C: 7F120280
	v_mov_b32_e32 v138, 0                                      // 000000002D70: 7F140280
	v_mov_b32_e32 v139, 0                                      // 000000002D74: 7F160280
	v_mov_b32_e32 v140, 0                                      // 000000002D78: 7F180280
	v_mov_b32_e32 v141, 0                                      // 000000002D7C: 7F1A0280
	v_mov_b32_e32 v142, 0                                      // 000000002D80: 7F1C0280
	v_mov_b32_e32 v143, 0                                      // 000000002D84: 7F1E0280
	v_mov_b32_e32 v144, 0                                      // 000000002D88: 7F200280
	v_mov_b32_e32 v145, 0                                      // 000000002D8C: 7F220280
	v_mov_b32_e32 v146, 0                                      // 000000002D90: 7F240280
	v_mov_b32_e32 v147, 0                                      // 000000002D94: 7F260280
	v_mov_b32_e32 v148, 0                                      // 000000002D98: 7F280280
	v_mov_b32_e32 v149, 0                                      // 000000002D9C: 7F2A0280
	v_mov_b32_e32 v150, 0                                      // 000000002DA0: 7F2C0280
	v_mov_b32_e32 v151, 0                                      // 000000002DA4: 7F2E0280
	v_mov_b32_e32 v152, 0                                      // 000000002DA8: 7F300280
	v_mov_b32_e32 v153, 0                                      // 000000002DAC: 7F320280
	v_mov_b32_e32 v154, 0                                      // 000000002DB0: 7F340280
	v_mov_b32_e32 v155, 0                                      // 000000002DB4: 7F360280
	v_mov_b32_e32 v156, 0                                      // 000000002DB8: 7F380280
	v_mov_b32_e32 v157, 0                                      // 000000002DBC: 7F3A0280
	v_mov_b32_e32 v158, 0                                      // 000000002DC0: 7F3C0280
	v_mov_b32_e32 v159, 0                                      // 000000002DC4: 7F3E0280
	v_mov_b32_e32 v160, 0                                      // 000000002DC8: 7F400280
	v_mov_b32_e32 v161, 0                                      // 000000002DCC: 7F420280
	v_mov_b32_e32 v162, 0                                      // 000000002DD0: 7F440280
	v_mov_b32_e32 v163, 0                                      // 000000002DD4: 7F460280
	v_mov_b32_e32 v164, 0                                      // 000000002DD8: 7F480280
	v_mov_b32_e32 v165, 0                                      // 000000002DDC: 7F4A0280
	v_mov_b32_e32 v166, 0                                      // 000000002DE0: 7F4C0280
	v_mov_b32_e32 v167, 0                                      // 000000002DE4: 7F4E0280
	v_mov_b32_e32 v168, 0                                      // 000000002DE8: 7F500280
	v_mov_b32_e32 v169, 0                                      // 000000002DEC: 7F520280
	v_mov_b32_e32 v170, 0                                      // 000000002DF0: 7F540280
	v_mov_b32_e32 v171, 0                                      // 000000002DF4: 7F560280
	v_mov_b32_e32 v172, 0                                      // 000000002DF8: 7F580280
	v_mov_b32_e32 v173, 0                                      // 000000002DFC: 7F5A0280
	v_mov_b32_e32 v174, 0                                      // 000000002E00: 7F5C0280
	v_mov_b32_e32 v175, 0                                      // 000000002E04: 7F5E0280
	v_mov_b32_e32 v176, 0                                      // 000000002E08: 7F600280
	v_mov_b32_e32 v177, 0                                      // 000000002E0C: 7F620280
	v_mov_b32_e32 v178, 0                                      // 000000002E10: 7F640280
	v_mov_b32_e32 v179, 0                                      // 000000002E14: 7F660280
	v_mov_b32_e32 v180, 0                                      // 000000002E18: 7F680280
	v_mov_b32_e32 v181, 0                                      // 000000002E1C: 7F6A0280
	v_mov_b32_e32 v182, 0                                      // 000000002E20: 7F6C0280
	v_mov_b32_e32 v183, 0                                      // 000000002E24: 7F6E0280
	v_mov_b32_e32 v184, 0                                      // 000000002E28: 7F700280
	v_mov_b32_e32 v185, 0                                      // 000000002E2C: 7F720280
	v_mov_b32_e32 v186, 0                                      // 000000002E30: 7F740280
	v_mov_b32_e32 v187, 0                                      // 000000002E34: 7F760280
	v_mov_b32_e32 v188, 0                                      // 000000002E38: 7F780280
	v_mov_b32_e32 v189, 0                                      // 000000002E3C: 7F7A0280
	v_mov_b32_e32 v190, 0                                      // 000000002E40: 7F7C0280
	v_mov_b32_e32 v191, 0                                      // 000000002E44: 7F7E0280
	v_accvgpr_write_b32 a144, 0                                // 000000002E48: D3D94090 18000080
	v_accvgpr_write_b32 a145, 0                                // 000000002E50: D3D94091 18000080
	v_accvgpr_write_b32 a146, 0                                // 000000002E58: D3D94092 18000080
	v_accvgpr_write_b32 a147, 0                                // 000000002E60: D3D94093 18000080
	v_accvgpr_write_b32 a148, 0                                // 000000002E68: D3D94094 18000080
	v_accvgpr_write_b32 a149, 0                                // 000000002E70: D3D94095 18000080
	v_accvgpr_write_b32 a150, 0                                // 000000002E78: D3D94096 18000080
	v_accvgpr_write_b32 a151, 0                                // 000000002E80: D3D94097 18000080
	v_accvgpr_write_b32 a152, 0                                // 000000002E88: D3D94098 18000080
	v_accvgpr_write_b32 a153, 0                                // 000000002E90: D3D94099 18000080
	v_accvgpr_write_b32 a154, 0                                // 000000002E98: D3D9409A 18000080
	v_accvgpr_write_b32 a155, 0                                // 000000002EA0: D3D9409B 18000080
	v_accvgpr_write_b32 a156, 0                                // 000000002EA8: D3D9409C 18000080
	v_accvgpr_write_b32 a157, 0                                // 000000002EB0: D3D9409D 18000080
	v_accvgpr_write_b32 a158, 0                                // 000000002EB8: D3D9409E 18000080
	v_accvgpr_write_b32 a159, 0                                // 000000002EC0: D3D9409F 18000080
	v_accvgpr_write_b32 a160, 0                                // 000000002EC8: D3D940A0 18000080
	v_accvgpr_write_b32 a161, 0                                // 000000002ED0: D3D940A1 18000080
	v_accvgpr_write_b32 a162, 0                                // 000000002ED8: D3D940A2 18000080
	v_accvgpr_write_b32 a163, 0                                // 000000002EE0: D3D940A3 18000080
	v_accvgpr_write_b32 a164, 0                                // 000000002EE8: D3D940A4 18000080
	v_accvgpr_write_b32 a165, 0                                // 000000002EF0: D3D940A5 18000080
	v_accvgpr_write_b32 a166, 0                                // 000000002EF8: D3D940A6 18000080
	v_accvgpr_write_b32 a167, 0                                // 000000002F00: D3D940A7 18000080
	v_accvgpr_write_b32 a168, 0                                // 000000002F08: D3D940A8 18000080
	v_accvgpr_write_b32 a169, 0                                // 000000002F10: D3D940A9 18000080
	v_accvgpr_write_b32 a170, 0                                // 000000002F18: D3D940AA 18000080
	v_accvgpr_write_b32 a171, 0                                // 000000002F20: D3D940AB 18000080
	v_accvgpr_write_b32 a172, 0                                // 000000002F28: D3D940AC 18000080
	v_accvgpr_write_b32 a173, 0                                // 000000002F30: D3D940AD 18000080
	v_accvgpr_write_b32 a174, 0                                // 000000002F38: D3D940AE 18000080
	v_accvgpr_write_b32 a175, 0                                // 000000002F40: D3D940AF 18000080
	v_accvgpr_write_b32 a176, 0                                // 000000002F48: D3D940B0 18000080
	v_accvgpr_write_b32 a177, 0                                // 000000002F50: D3D940B1 18000080
	v_accvgpr_write_b32 a178, 0                                // 000000002F58: D3D940B2 18000080
	v_accvgpr_write_b32 a179, 0                                // 000000002F60: D3D940B3 18000080
	v_accvgpr_write_b32 a180, 0                                // 000000002F68: D3D940B4 18000080
	v_accvgpr_write_b32 a181, 0                                // 000000002F70: D3D940B5 18000080
	v_accvgpr_write_b32 a182, 0                                // 000000002F78: D3D940B6 18000080
	v_accvgpr_write_b32 a183, 0                                // 000000002F80: D3D940B7 18000080
	v_accvgpr_write_b32 a184, 0                                // 000000002F88: D3D940B8 18000080
	v_accvgpr_write_b32 a185, 0                                // 000000002F90: D3D940B9 18000080
	v_accvgpr_write_b32 a186, 0                                // 000000002F98: D3D940BA 18000080
	v_accvgpr_write_b32 a187, 0                                // 000000002FA0: D3D940BB 18000080
	v_accvgpr_write_b32 a188, 0                                // 000000002FA8: D3D940BC 18000080
	v_accvgpr_write_b32 a189, 0                                // 000000002FB0: D3D940BD 18000080
	v_accvgpr_write_b32 a190, 0                                // 000000002FB8: D3D940BE 18000080
	v_accvgpr_write_b32 a191, 0                                // 000000002FC0: D3D940BF 18000080
	v_accvgpr_write_b32 a192, 0                                // 000000002FC8: D3D940C0 18000080
	v_accvgpr_write_b32 a193, 0                                // 000000002FD0: D3D940C1 18000080
	v_accvgpr_write_b32 a194, 0                                // 000000002FD8: D3D940C2 18000080
	v_accvgpr_write_b32 a195, 0                                // 000000002FE0: D3D940C3 18000080
	v_accvgpr_write_b32 a196, 0                                // 000000002FE8: D3D940C4 18000080
	v_accvgpr_write_b32 a197, 0                                // 000000002FF0: D3D940C5 18000080
	v_accvgpr_write_b32 a198, 0                                // 000000002FF8: D3D940C6 18000080
	v_accvgpr_write_b32 a199, 0                                // 000000003000: D3D940C7 18000080
	v_accvgpr_write_b32 a200, 0                                // 000000003008: D3D940C8 18000080
	v_accvgpr_write_b32 a201, 0                                // 000000003010: D3D940C9 18000080
	v_accvgpr_write_b32 a202, 0                                // 000000003018: D3D940CA 18000080
	v_accvgpr_write_b32 a203, 0                                // 000000003020: D3D940CB 18000080
	v_accvgpr_write_b32 a204, 0                                // 000000003028: D3D940CC 18000080
	v_accvgpr_write_b32 a205, 0                                // 000000003030: D3D940CD 18000080
	v_accvgpr_write_b32 a206, 0                                // 000000003038: D3D940CE 18000080
	v_accvgpr_write_b32 a207, 0                                // 000000003040: D3D940CF 18000080
	v_accvgpr_write_b32 a208, 0                                // 000000003048: D3D940D0 18000080
	v_accvgpr_write_b32 a209, 0                                // 000000003050: D3D940D1 18000080
	v_accvgpr_write_b32 a210, 0                                // 000000003058: D3D940D2 18000080
	v_accvgpr_write_b32 a211, 0                                // 000000003060: D3D940D3 18000080
	v_accvgpr_write_b32 a212, 0                                // 000000003068: D3D940D4 18000080
	v_accvgpr_write_b32 a213, 0                                // 000000003070: D3D940D5 18000080
	v_accvgpr_write_b32 a214, 0                                // 000000003078: D3D940D6 18000080
	v_accvgpr_write_b32 a215, 0                                // 000000003080: D3D940D7 18000080
	v_accvgpr_write_b32 a216, 0                                // 000000003088: D3D940D8 18000080
	v_accvgpr_write_b32 a217, 0                                // 000000003090: D3D940D9 18000080
	v_accvgpr_write_b32 a218, 0                                // 000000003098: D3D940DA 18000080
	v_accvgpr_write_b32 a219, 0                                // 0000000030A0: D3D940DB 18000080
	v_accvgpr_write_b32 a220, 0                                // 0000000030A8: D3D940DC 18000080
	v_accvgpr_write_b32 a221, 0                                // 0000000030B0: D3D940DD 18000080
	v_accvgpr_write_b32 a222, 0                                // 0000000030B8: D3D940DE 18000080
	v_accvgpr_write_b32 a223, 0                                // 0000000030C0: D3D940DF 18000080
	v_accvgpr_write_b32 a224, 0                                // 0000000030C8: D3D940E0 18000080
	v_accvgpr_write_b32 a225, 0                                // 0000000030D0: D3D940E1 18000080
	v_accvgpr_write_b32 a226, 0                                // 0000000030D8: D3D940E2 18000080
	v_accvgpr_write_b32 a227, 0                                // 0000000030E0: D3D940E3 18000080
	v_accvgpr_write_b32 a228, 0                                // 0000000030E8: D3D940E4 18000080
	v_accvgpr_write_b32 a229, 0                                // 0000000030F0: D3D940E5 18000080
	v_accvgpr_write_b32 a230, 0                                // 0000000030F8: D3D940E6 18000080
	v_accvgpr_write_b32 a231, 0                                // 000000003100: D3D940E7 18000080
	v_accvgpr_write_b32 a232, 0                                // 000000003108: D3D940E8 18000080
	v_accvgpr_write_b32 a233, 0                                // 000000003110: D3D940E9 18000080
	v_accvgpr_write_b32 a234, 0                                // 000000003118: D3D940EA 18000080
	v_accvgpr_write_b32 a235, 0                                // 000000003120: D3D940EB 18000080
	v_accvgpr_write_b32 a236, 0                                // 000000003128: D3D940EC 18000080
	v_accvgpr_write_b32 a237, 0                                // 000000003130: D3D940ED 18000080
	v_accvgpr_write_b32 a238, 0                                // 000000003138: D3D940EE 18000080
	v_accvgpr_write_b32 a239, 0                                // 000000003140: D3D940EF 18000080
	v_and_b32_e32 v28, 15, v0                                  // 000000003148: 2638008F
	v_lshlrev_b32_e32 v28, 4, v28                              // 00000000314C: 24383884
	v_and_b32_e32 v29, 31, v0                                  // 000000003150: 263A009F
	v_lshrrev_b32_e32 v29, 4, v29                              // 000000003154: 203A3A84
	s_mov_b32 s56, 0x900                                       // 000000003158: BEB800FF 00000900
	v_mul_i32_i24_e32 v29, s56, v29                            // 000000003160: 0C3A3A38
	v_add_u32_e32 v18, v28, v29                                // 000000003164: 68243B1C
	v_mov_b32_e32 v19, v18                                     // 000000003168: 7E260312
	v_and_b32_e32 v28, 15, v0                                  // 00000000316C: 2638008F
	v_lshrrev_b32_e32 v28, 3, v28                              // 000000003170: 20383883
	v_lshlrev_b32_e32 v28, 3, v28                              // 000000003174: 24383883
	v_lshrrev_b32_e32 v29, 5, v0                               // 000000003178: 203A0085
	v_lshlrev_b32_e32 v29, 2, v29                              // 00000000317C: 243A3A82
	v_add_u32_e32 v18, v18, v28                                // 000000003180: 68243912
	v_add_u32_e32 v18, v18, v29                                // 000000003184: 68243B12
	v_and_b32_e32 v28, 15, v0                                  // 000000003188: 2638008F
	v_lshrrev_b32_e32 v28, 3, v28                              // 00000000318C: 20383883
	s_mov_b32 s56, 1                                           // 000000003190: BEB80081
	v_mov_b32_e32 v29, s56                                     // 000000003194: 7E3A0238
	v_xor_b32_e32 v28, v29, v28                                // 000000003198: 2A38391D
	v_lshlrev_b32_e32 v28, 3, v28                              // 00000000319C: 24383883
	v_lshrrev_b32_e32 v29, 5, v0                               // 0000000031A0: 203A0085
	v_lshlrev_b32_e32 v29, 2, v29                              // 0000000031A4: 243A3A82
	v_add_u32_e32 v19, v19, v28                                // 0000000031A8: 68263913
	v_add_u32_e32 v19, v19, v29                                // 0000000031AC: 68263B13
	s_mov_b32 s56, 0                                           // 0000000031B0: BEB80080
	v_lshlrev_b32_e32 v18, 2, v18                              // 0000000031B4: 24242482
	v_lshlrev_b32_e32 v19, 2, v19                              // 0000000031B8: 24262682
	s_mov_b32 s56, 0xb000                                      // 0000000031BC: BEB800FF 0000B000
	v_add_u32_e32 v18, s56, v18                                // 0000000031C4: 68242438
	v_add_u32_e32 v19, s56, v19                                // 0000000031C8: 68262638
	s_mov_b32 s57, 0x9000                                      // 0000000031CC: BEB900FF 00009000
	v_add_u32_e32 v20, s57, v18                                // 0000000031D4: 68282439
	v_add_u32_e32 v21, s57, v19                                // 0000000031D8: 682A2639
	v_add_u32_e32 v22, s57, v20                                // 0000000031DC: 682C2839
	v_add_u32_e32 v23, s57, v21                                // 0000000031E0: 682E2A39
	v_and_b32_e32 v28, 15, v0                                  // 0000000031E4: 2638008F
	v_lshrrev_b32_e32 v28, 1, v28                              // 0000000031E8: 20383881
	v_lshlrev_b32_e32 v28, 4, v28                              // 0000000031EC: 24383884
	v_and_b32_e32 v29, 1, v0                                   // 0000000031F0: 263A0081
	v_lshlrev_b32_e32 v29, 1, v29                              // 0000000031F4: 243A3A81
	v_and_b32_e32 v30, 31, v0                                  // 0000000031F8: 263C009F
	v_lshrrev_b32_e32 v30, 4, v30                              // 0000000031FC: 203C3C84
	v_lshlrev_b32_e32 v30, 2, v30                              // 000000003200: 243C3C82
	v_lshrrev_b32_e32 v31, 5, v0                               // 000000003204: 203E0085
	s_mov_b32 s56, 0x900                                       // 000000003208: BEB800FF 00000900
	v_mul_i32_i24_e32 v31, s56, v31                            // 000000003210: 0C3E3E38
	v_add_u32_e32 v5, v28, v29                                 // 000000003214: 680A3B1C
	v_add_u32_e32 v5, v30, v5                                  // 000000003218: 680A0B1E
	v_add_u32_e32 v5, v31, v5                                  // 00000000321C: 680A0B1F
	s_mov_b32 s56, 0x88                                        // 000000003220: BEB800FF 00000088
	v_add_u32_e32 v6, s56, v5                                  // 000000003228: 680C0A38
	s_mov_b32 s56, 8                                           // 00000000322C: BEB80088
	v_add_u32_e32 v7, s56, v5                                  // 000000003230: 680E0A38
	s_mov_b32 s56, 0x80                                        // 000000003234: BEB800FF 00000080
	v_add_u32_e32 v8, s56, v5                                  // 00000000323C: 68100A38
	v_lshlrev_b32_e32 v5, 2, v5                                // 000000003240: 240A0A82
	v_lshlrev_b32_e32 v6, 2, v6                                // 000000003244: 240C0C82
	v_lshlrev_b32_e32 v7, 2, v7                                // 000000003248: 240E0E82
	v_lshlrev_b32_e32 v8, 2, v8                                // 00000000324C: 24101082
	s_mov_b32 s56, 0xb000                                      // 000000003250: BEB800FF 0000B000
	v_add_u32_e32 v5, s56, v5                                  // 000000003258: 680A0A38
	v_add_u32_e32 v6, s56, v6                                  // 00000000325C: 680C0C38
	v_add_u32_e32 v7, s56, v7                                  // 000000003260: 680E0E38
	v_add_u32_e32 v8, s56, v8                                  // 000000003264: 68101038
	s_mov_b32 s56, 0x9000                                      // 000000003268: BEB800FF 00009000
	v_add_u32_e32 v9, s56, v5                                  // 000000003270: 68120A38
	v_add_u32_e32 v10, s56, v6                                 // 000000003274: 68140C38
	v_add_u32_e32 v11, s56, v7                                 // 000000003278: 68160E38
	v_add_u32_e32 v12, s56, v8                                 // 00000000327C: 68181038
	v_add_u32_e32 v13, s56, v9                                 // 000000003280: 681A1238
	v_add_u32_e32 v14, s56, v10                                // 000000003284: 681C1438
	v_add_u32_e32 v15, s56, v11                                // 000000003288: 681E1638
	v_add_u32_e32 v16, s56, v12                                // 00000000328C: 68201838
	v_mul_u32_u24_e64 v31, v25, s68                            // 000000003290: D108001F 00008919
	v_add_u32_e32 v31, v31, v1                                 // 000000003298: 683E031F
	s_mov_b32 s56, 0x1d000                                     // 00000000329C: BEB800FF 0001D000
	s_mul_i32 s57, s7, 0x2400                                  // 0000000032A4: 9239FF07 00002400
	s_add_u32 m0, s56, s57                                     // 0000000032AC: 807C3938
	buffer_load_dwordx4 v31, s[20:23], 0 offen lds             // 0000000032B0: E05D1000 8005001F
	s_add_i32 m0, m0, 0x3c0                                    // 0000000032B8: 817CFF7C 000003C0
	buffer_load_dwordx4 v31, s[20:23], 0 offen offset:64 lds   // 0000000032C0: E05D1040 8005001F
	s_add_i32 m0, m0, 0x3c0                                    // 0000000032C8: 817CFF7C 000003C0
	buffer_load_dwordx4 v31, s[20:23], 0 offen offset:128 lds  // 0000000032D0: E05D1080 8005001F
	s_add_i32 m0, m0, 0x3c0                                    // 0000000032D8: 817CFF7C 000003C0
	buffer_load_dwordx4 v31, s[20:23], 0 offen offset:192 lds  // 0000000032E0: E05D10C0 8005001F
	s_add_i32 m0, m0, 0x3c0                                    // 0000000032E8: 817CFF7C 000003C0
	buffer_load_dwordx4 v31, s[20:23], 0 offen offset:256 lds  // 0000000032F0: E05D1100 8005001F
	s_add_i32 m0, m0, 0x3c0                                    // 0000000032F8: 817CFF7C 000003C0
	buffer_load_dwordx4 v31, s[20:23], 0 offen offset:320 lds  // 000000003300: E05D1140 8005001F
	s_add_i32 m0, m0, 0x3c0                                    // 000000003308: 817CFF7C 000003C0
	buffer_load_dwordx4 v31, s[20:23], 0 offen offset:384 lds  // 000000003310: E05D1180 8005001F
	s_add_i32 m0, m0, 0x3c0                                    // 000000003318: 817CFF7C 000003C0
	buffer_load_dwordx4 v31, s[20:23], 0 offen offset:448 lds  // 000000003320: E05D11C0 8005001F
	s_add_i32 m0, m0, 0x3c0                                    // 000000003328: 817CFF7C 000003C0
	buffer_load_dwordx4 v31, s[20:23], 0 offen offset:512 lds  // 000000003330: E05D1200 8005001F
	s_add_i32 m0, m0, 0x3c0                                    // 000000003338: 817CFF7C 000003C0
	buffer_load_dword v24, v27, s[24:27], 0 offen              // 000000003340: E0501000 8006181B
	v_add_u32_e32 v27, s73, v27                                // 000000003348: 68363649
	s_waitcnt vmcnt(10)                                        // 00000000334C: BF8C0F7A
	s_barrier                                                  // 000000003350: BF8A0000
	s_waitcnt lgkmcnt(0)                                       // 000000003354: BF8CC07F
	ds_read_b128 a[72:75], v20                                 // 000000003358: DBFE0000 48000014
	ds_read_b128 a[76:79], v21                                 // 000000003360: DBFE0000 4C000015
	ds_read_b128 a[80:83], v20 offset:1024                     // 000000003368: DBFE0400 50000014
	ds_read_b128 a[84:87], v21 offset:1024                     // 000000003370: DBFE0400 54000015
	ds_read_b128 a[88:91], v20 offset:2048                     // 000000003378: DBFE0800 58000014
	ds_read_b128 a[92:95], v21 offset:2048                     // 000000003380: DBFE0800 5C000015
	ds_read_b128 a[96:99], v20 offset:3072                     // 000000003388: DBFE0C00 60000014
	ds_read_b128 a[100:103], v21 offset:3072                   // 000000003390: DBFE0C00 64000015
	ds_read_b128 a[104:107], v20 offset:4096                   // 000000003398: DBFE1000 68000014
	ds_read_b128 a[108:111], v21 offset:4096                   // 0000000033A0: DBFE1000 6C000015
	ds_read_b128 a[112:115], v20 offset:5120                   // 0000000033A8: DBFE1400 70000014
	ds_read_b128 a[116:119], v21 offset:5120                   // 0000000033B0: DBFE1400 74000015
	ds_read_b128 a[120:123], v20 offset:6144                   // 0000000033B8: DBFE1800 78000014
	ds_read_b128 a[124:127], v21 offset:6144                   // 0000000033C0: DBFE1800 7C000015
	ds_read_b128 a[128:131], v20 offset:7168                   // 0000000033C8: DBFE1C00 80000014
	ds_read_b128 a[132:135], v21 offset:7168                   // 0000000033D0: DBFE1C00 84000015
	ds_read_b128 a[136:139], v20 offset:8192                   // 0000000033D8: DBFE2000 88000014
	ds_read_b128 a[140:143], v21 offset:8192                   // 0000000033E0: DBFE2000 8C000015
	s_cmp_lt_u32 s71, 1                                        // 0000000033E8: BF0A8147
	s_cbranch_scc1 label_9454                                  // 0000000033EC: BF8520D9
	s_cmp_lt_i32 s7, 2                                         // 0000000033F0: BF048207
	s_cbranch_scc0 label_52A8                                  // 0000000033F4: BF84106C

00000000000033f8 <label_10F8>:
	s_waitcnt lgkmcnt(4)                                       // 0000000033F8: BF8CC47F
	v_mfma_f32_32x32x64_f8f6f4 v[32:47], a[72:79], a[0:7], 0   // 0000000033FC: D3AE0020 1A020148
	v_mul_u32_u24_e64 v31, v26, s68                            // 000000003404: D108001F 0000891A
	v_add_u32_e32 v31, v31, v1                                 // 00000000340C: 683E031F
	buffer_load_dword v25, v27, s[24:27], 0 offen              // 000000003410: E0501000 8006191B
	v_mfma_f32_32x32x64_f8f6f4 v[32:47], a[80:87], a[8:15], v[32:47]// 000000003418: D3AE0020 1C821150
	s_mov_b32 s56, 0xb000                                      // 000000003420: BEB800FF 0000B000
	s_mul_i32 s57, s7, 0x2400                                  // 000000003428: 9239FF07 00002400
	s_add_u32 m0, s56, s57                                     // 000000003430: 807C3938
	buffer_load_dwordx4 v31, s[20:23], 0 offen lds             // 000000003434: E05D1000 8005001F
	s_add_i32 m0, m0, 0x3c0                                    // 00000000343C: 817CFF7C 000003C0
	v_mfma_f32_32x32x64_f8f6f4 v[32:47], a[88:95], a[16:23], v[32:47]// 000000003444: D3AE0020 1C822158
	ds_read_b128 a[72:75], v20 offset:18432                    // 00000000344C: DBFE4800 48000014
	ds_read_b128 a[76:79], v21 offset:18432                    // 000000003454: DBFE4800 4C000015
	v_mfma_f32_32x32x64_f8f6f4 v[32:47], a[96:103], a[24:31], v[32:47]// 00000000345C: D3AE0020 1C823160
	buffer_load_dwordx4 v31, s[20:23], 0 offen offset:64 lds   // 000000003464: E05D1040 8005001F
	s_add_i32 m0, m0, 0x3c0                                    // 00000000346C: 817CFF7C 000003C0
	ds_read_b128 a[80:83], v20 offset:19456                    // 000000003474: DBFE4C00 50000014
	ds_read_b128 a[84:87], v21 offset:19456                    // 00000000347C: DBFE4C00 54000015
	v_mfma_f32_32x32x64_f8f6f4 v[32:47], a[104:111], a[32:39], v[32:47]// 000000003484: D3AE0020 1C824168
	ds_read_b128 a[88:91], v20 offset:20480                    // 00000000348C: DBFE5000 58000014
	ds_read_b128 a[92:95], v21 offset:20480                    // 000000003494: DBFE5000 5C000015
	v_mfma_f32_32x32x64_f8f6f4 v[32:47], a[112:119], a[40:47], v[32:47]// 00000000349C: D3AE0020 1C825170
	buffer_load_dwordx4 v31, s[20:23], 0 offen offset:128 lds  // 0000000034A4: E05D1080 8005001F
	s_add_i32 m0, m0, 0x3c0                                    // 0000000034AC: 817CFF7C 000003C0
	ds_read_b128 a[96:99], v20 offset:21504                    // 0000000034B4: DBFE5400 60000014
	ds_read_b128 a[100:103], v21 offset:21504                  // 0000000034BC: DBFE5400 64000015
	v_mfma_f32_32x32x64_f8f6f4 v[32:47], a[120:127], a[48:55], v[32:47]// 0000000034C4: D3AE0020 1C826178
	ds_read_b128 a[104:107], v20 offset:22528                  // 0000000034CC: DBFE5800 68000014
	ds_read_b128 a[108:111], v21 offset:22528                  // 0000000034D4: DBFE5800 6C000015
	v_mfma_f32_32x32x64_f8f6f4 v[32:47], a[128:135], a[56:63], v[32:47]// 0000000034DC: D3AE0020 1C827180
	buffer_load_dwordx4 v31, s[20:23], 0 offen offset:192 lds  // 0000000034E4: E05D10C0 8005001F
	s_add_i32 m0, m0, 0x3c0                                    // 0000000034EC: 817CFF7C 000003C0
	ds_read_b128 a[112:115], v20 offset:23552                  // 0000000034F4: DBFE5C00 70000014
	ds_read_b128 a[116:119], v21 offset:23552                  // 0000000034FC: DBFE5C00 74000015
	v_mfma_f32_32x32x64_f8f6f4 v[32:47], a[136:143], a[64:71], v[32:47]// 000000003504: D3AE0020 1C828188
	ds_read_b128 a[120:123], v20 offset:24576                  // 00000000350C: DBFE6000 78000014
	ds_read_b128 a[124:127], v21 offset:24576                  // 000000003514: DBFE6000 7C000015
	buffer_load_dwordx4 v31, s[20:23], 0 offen offset:256 lds  // 00000000351C: E05D1100 8005001F
	s_add_i32 m0, m0, 0x3c0                                    // 000000003524: 817CFF7C 000003C0
	buffer_load_dwordx4 v31, s[20:23], 0 offen offset:320 lds  // 00000000352C: E05D1140 8005001F
	s_add_i32 m0, m0, 0x3c0                                    // 000000003534: 817CFF7C 000003C0
	buffer_load_dwordx4 v31, s[20:23], 0 offen offset:384 lds  // 00000000353C: E05D1180 8005001F
	s_add_i32 m0, m0, 0x3c0                                    // 000000003544: 817CFF7C 000003C0
	buffer_load_dwordx4 v31, s[20:23], 0 offen offset:448 lds  // 00000000354C: E05D11C0 8005001F
	s_add_i32 m0, m0, 0x3c0                                    // 000000003554: 817CFF7C 000003C0
	buffer_load_dwordx4 v31, s[20:23], 0 offen offset:512 lds  // 00000000355C: E05D1200 8005001F
	s_add_i32 m0, m0, 0x3c0                                    // 000000003564: 817CFF7C 000003C0
	ds_read_b128 a[128:131], v20 offset:25600                  // 00000000356C: DBFE6400 80000014
	ds_read_b128 a[132:135], v21 offset:25600                  // 000000003574: DBFE6400 84000015
	ds_read_b128 a[136:139], v20 offset:26624                  // 00000000357C: DBFE6800 88000014
	ds_read_b128 a[140:143], v21 offset:26624                  // 000000003584: DBFE6800 8C000015
	v_add_u32_e32 v27, s73, v27                                // 00000000358C: 68363649
	s_waitcnt lgkmcnt(4)                                       // 000000003590: BF8CC47F
	v_mfma_f32_32x32x64_f8f6f4 v[48:63], a[72:79], a[0:7], 0   // 000000003594: D3AE0030 1A020148
	v_mfma_f32_32x32x64_f8f6f4 v[48:63], a[80:87], a[8:15], v[48:63]// 00000000359C: D3AE0030 1CC21150
	v_mfma_f32_32x32x64_f8f6f4 v[48:63], a[88:95], a[16:23], v[48:63]// 0000000035A4: D3AE0030 1CC22158
	ds_read_b64_tr_b8 a[72:73], v9                             // 0000000035AC: DBC40000 48000009
	ds_read_b64_tr_b8 a[74:75], v10                            // 0000000035B4: DBC40000 4A00000A
	ds_read_b64_tr_b8 a[76:77], v9 offset:18432                // 0000000035BC: DBC44800 4C000009
	ds_read_b64_tr_b8 a[78:79], v10 offset:18432               // 0000000035C4: DBC44800 4E00000A
	v_mfma_f32_32x32x64_f8f6f4 v[48:63], a[96:103], a[24:31], v[48:63]// 0000000035CC: D3AE0030 1CC23160
	ds_read_b64_tr_b8 a[80:81], v11                            // 0000000035D4: DBC40000 5000000B
	ds_read_b64_tr_b8 a[82:83], v12                            // 0000000035DC: DBC40000 5200000C
	ds_read_b64_tr_b8 a[84:85], v11 offset:18432               // 0000000035E4: DBC44800 5400000B
	ds_read_b64_tr_b8 a[86:87], v12 offset:18432               // 0000000035EC: DBC44800 5600000C
	v_mfma_f32_32x32x64_f8f6f4 v[48:63], a[104:111], a[32:39], v[48:63]// 0000000035F4: D3AE0030 1CC24168
	ds_read_b64_tr_b8 a[88:89], v9 offset:1024                 // 0000000035FC: DBC40400 58000009
	ds_read_b64_tr_b8 a[90:91], v10 offset:1024                // 000000003604: DBC40400 5A00000A
	ds_read_b64_tr_b8 a[92:93], v9 offset:19456                // 00000000360C: DBC44C00 5C000009
	ds_read_b64_tr_b8 a[94:95], v10 offset:19456               // 000000003614: DBC44C00 5E00000A
	v_mfma_f32_32x32x64_f8f6f4 v[48:63], a[112:119], a[40:47], v[48:63]// 00000000361C: D3AE0030 1CC25170
	ds_read_b64_tr_b8 a[96:97], v11 offset:1024                // 000000003624: DBC40400 6000000B
	ds_read_b64_tr_b8 a[98:99], v12 offset:1024                // 00000000362C: DBC40400 6200000C
	ds_read_b64_tr_b8 a[100:101], v11 offset:19456             // 000000003634: DBC44C00 6400000B
	ds_read_b64_tr_b8 a[102:103], v12 offset:19456             // 00000000363C: DBC44C00 6600000C
	v_mfma_f32_32x32x64_f8f6f4 v[48:63], a[120:127], a[48:55], v[48:63]// 000000003644: D3AE0030 1CC26178
	ds_read_b64_tr_b8 a[104:105], v9 offset:2048               // 00000000364C: DBC40800 68000009
	ds_read_b64_tr_b8 a[106:107], v10 offset:2048              // 000000003654: DBC40800 6A00000A
	ds_read_b64_tr_b8 a[108:109], v9 offset:20480              // 00000000365C: DBC45000 6C000009
	ds_read_b64_tr_b8 a[110:111], v10 offset:20480             // 000000003664: DBC45000 6E00000A
	v_mfma_f32_32x32x64_f8f6f4 v[48:63], a[128:135], a[56:63], v[48:63]// 00000000366C: D3AE0030 1CC27180
	ds_read_b64_tr_b8 a[112:113], v11 offset:2048              // 000000003674: DBC40800 7000000B
	ds_read_b64_tr_b8 a[114:115], v12 offset:2048              // 00000000367C: DBC40800 7200000C
	ds_read_b64_tr_b8 a[116:117], v11 offset:20480             // 000000003684: DBC45000 7400000B
	ds_read_b64_tr_b8 a[118:119], v12 offset:20480             // 00000000368C: DBC45000 7600000C
	v_mfma_f32_32x32x64_f8f6f4 v[48:63], a[136:143], a[64:71], v[48:63]// 000000003694: D3AE0030 1CC28188
	ds_read_b64_tr_b8 a[120:121], v9 offset:3072               // 00000000369C: DBC40C00 78000009
	ds_read_b64_tr_b8 a[122:123], v10 offset:3072              // 0000000036A4: DBC40C00 7A00000A
	ds_read_b64_tr_b8 a[124:125], v9 offset:21504              // 0000000036AC: DBC45400 7C000009
	ds_read_b64_tr_b8 a[126:127], v10 offset:21504             // 0000000036B4: DBC45400 7E00000A
	ds_read_b64_tr_b8 a[128:129], v11 offset:3072              // 0000000036BC: DBC40C00 8000000B
	ds_read_b64_tr_b8 a[130:131], v12 offset:3072              // 0000000036C4: DBC40C00 8200000C
	ds_read_b64_tr_b8 a[132:133], v11 offset:21504             // 0000000036CC: DBC45400 8400000B
	ds_read_b64_tr_b8 a[134:135], v12 offset:21504             // 0000000036D4: DBC45400 8600000C
	s_cmp_le_i32 s83, s82                                      // 0000000036DC: BF055253
	s_cbranch_scc1 label_1734                                  // 0000000036E0: BF8500D4
	v_mov_b32_e32 v28, s82                                     // 0000000036E4: 7E380252
	s_cmp_eq_i32 s81, 1                                        // 0000000036E8: BF008151
	s_cbranch_scc1 label_1410                                  // 0000000036EC: BF850008
	s_cmp_eq_i32 s81, 2                                        // 0000000036F0: BF008251
	s_cbranch_scc1 label_1404                                  // 0000000036F4: BF850003
	v_add_i32 v28, s7, v28                                     // 0000000036F8: D29C001C 00023807
	s_branch label_1410                                        // 000000003700: BF820003

0000000000003704 <label_1404>:
	s_lshr_b32 s56, s7, 1                                      // 000000003704: 8F388107
	v_add_u32_e32 v28, s56, v28                                // 000000003708: 68383838
	s_branch label_1410                                        // 00000000370C: BF820000

0000000000003710 <label_1410>:
	s_sub_u32 s56, s83, 63                                     // 000000003710: 80B8BF53
	v_lshrrev_b32_e32 v223, 5, v0                              // 000000003714: 21BE0085
	v_mul_i32_i24_e32 v223, 4, v223                            // 000000003718: 0DBFBE84
	v_add_u32_e32 v223, s56, v223                              // 00000000371C: 69BFBE38
	v_add_u32_e32 v224, 1, v223                                // 000000003720: 69C1BE81
	v_add_u32_e32 v225, 2, v223                                // 000000003724: 69C3BE82
	v_add_u32_e32 v226, 3, v223                                // 000000003728: 69C5BE83
	v_mov_b32_e32 v31, 0xff800000                              // 00000000372C: 7E3E02FF FF800000
	v_cmp_le_i32_e64 s[36:37], v223, v28                       // 000000003734: D0C30024 000239DF
	s_nop 0                                                    // 00000000373C: BF800000
	v_cndmask_b32_e64 v32, v31, v32, s[36:37]                  // 000000003740: D1000020 0092411F
	v_add_u32_e32 v223, 8, v223                                // 000000003748: 69BFBE88
	v_cmp_le_i32_e64 s[36:37], v224, v28                       // 00000000374C: D0C30024 000239E0
	s_nop 0                                                    // 000000003754: BF800000
	v_cndmask_b32_e64 v33, v31, v33, s[36:37]                  // 000000003758: D1000021 0092431F
	v_add_u32_e32 v224, 8, v224                                // 000000003760: 69C1C088
	v_cmp_le_i32_e64 s[36:37], v225, v28                       // 000000003764: D0C30024 000239E1
	s_nop 0                                                    // 00000000376C: BF800000
	v_cndmask_b32_e64 v34, v31, v34, s[36:37]                  // 000000003770: D1000022 0092451F
	v_add_u32_e32 v225, 8, v225                                // 000000003778: 69C3C288
	v_cmp_le_i32_e64 s[36:37], v226, v28                       // 00000000377C: D0C30024 000239E2
	s_nop 0                                                    // 000000003784: BF800000
	v_cndmask_b32_e64 v35, v31, v35, s[36:37]                  // 000000003788: D1000023 0092471F
	v_add_u32_e32 v226, 8, v226                                // 000000003790: 69C5C488
	v_cmp_le_i32_e64 s[36:37], v223, v28                       // 000000003794: D0C30024 000239DF
	s_nop 0                                                    // 00000000379C: BF800000
	v_cndmask_b32_e64 v36, v31, v36, s[36:37]                  // 0000000037A0: D1000024 0092491F
	v_add_u32_e32 v223, 8, v223                                // 0000000037A8: 69BFBE88
	v_cmp_le_i32_e64 s[36:37], v224, v28                       // 0000000037AC: D0C30024 000239E0
	s_nop 0                                                    // 0000000037B4: BF800000
	v_cndmask_b32_e64 v37, v31, v37, s[36:37]                  // 0000000037B8: D1000025 00924B1F
	v_add_u32_e32 v224, 8, v224                                // 0000000037C0: 69C1C088
	v_cmp_le_i32_e64 s[36:37], v225, v28                       // 0000000037C4: D0C30024 000239E1
	s_nop 0                                                    // 0000000037CC: BF800000
	v_cndmask_b32_e64 v38, v31, v38, s[36:37]                  // 0000000037D0: D1000026 00924D1F
	v_add_u32_e32 v225, 8, v225                                // 0000000037D8: 69C3C288
	v_cmp_le_i32_e64 s[36:37], v226, v28                       // 0000000037DC: D0C30024 000239E2
	s_nop 0                                                    // 0000000037E4: BF800000
	v_cndmask_b32_e64 v39, v31, v39, s[36:37]                  // 0000000037E8: D1000027 00924F1F
	v_add_u32_e32 v226, 8, v226                                // 0000000037F0: 69C5C488
	v_cmp_le_i32_e64 s[36:37], v223, v28                       // 0000000037F4: D0C30024 000239DF
	s_nop 0                                                    // 0000000037FC: BF800000
	v_cndmask_b32_e64 v40, v31, v40, s[36:37]                  // 000000003800: D1000028 0092511F
	v_add_u32_e32 v223, 8, v223                                // 000000003808: 69BFBE88
	v_cmp_le_i32_e64 s[36:37], v224, v28                       // 00000000380C: D0C30024 000239E0
	s_nop 0                                                    // 000000003814: BF800000
	v_cndmask_b32_e64 v41, v31, v41, s[36:37]                  // 000000003818: D1000029 0092531F
	v_add_u32_e32 v224, 8, v224                                // 000000003820: 69C1C088
	v_cmp_le_i32_e64 s[36:37], v225, v28                       // 000000003824: D0C30024 000239E1
	s_nop 0                                                    // 00000000382C: BF800000
	v_cndmask_b32_e64 v42, v31, v42, s[36:37]                  // 000000003830: D100002A 0092551F
	v_add_u32_e32 v225, 8, v225                                // 000000003838: 69C3C288
	v_cmp_le_i32_e64 s[36:37], v226, v28                       // 00000000383C: D0C30024 000239E2
	s_nop 0                                                    // 000000003844: BF800000
	v_cndmask_b32_e64 v43, v31, v43, s[36:37]                  // 000000003848: D100002B 0092571F
	v_add_u32_e32 v226, 8, v226                                // 000000003850: 69C5C488
	v_cmp_le_i32_e64 s[36:37], v223, v28                       // 000000003854: D0C30024 000239DF
	s_nop 0                                                    // 00000000385C: BF800000
	v_cndmask_b32_e64 v44, v31, v44, s[36:37]                  // 000000003860: D100002C 0092591F
	v_add_u32_e32 v223, 8, v223                                // 000000003868: 69BFBE88
	v_cmp_le_i32_e64 s[36:37], v224, v28                       // 00000000386C: D0C30024 000239E0
	s_nop 0                                                    // 000000003874: BF800000
	v_cndmask_b32_e64 v45, v31, v45, s[36:37]                  // 000000003878: D100002D 00925B1F
	v_add_u32_e32 v224, 8, v224                                // 000000003880: 69C1C088
	v_cmp_le_i32_e64 s[36:37], v225, v28                       // 000000003884: D0C30024 000239E1
	s_nop 0                                                    // 00000000388C: BF800000
	v_cndmask_b32_e64 v46, v31, v46, s[36:37]                  // 000000003890: D100002E 00925D1F
	v_add_u32_e32 v225, 8, v225                                // 000000003898: 69C3C288
	v_cmp_le_i32_e64 s[36:37], v226, v28                       // 00000000389C: D0C30024 000239E2
	s_nop 0                                                    // 0000000038A4: BF800000
	v_cndmask_b32_e64 v47, v31, v47, s[36:37]                  // 0000000038A8: D100002F 00925F1F
	v_add_u32_e32 v226, 8, v226                                // 0000000038B0: 69C5C488
	v_cmp_le_i32_e64 s[36:37], v223, v28                       // 0000000038B4: D0C30024 000239DF
	s_nop 0                                                    // 0000000038BC: BF800000
	v_cndmask_b32_e64 v48, v31, v48, s[36:37]                  // 0000000038C0: D1000030 0092611F
	v_add_u32_e32 v223, 8, v223                                // 0000000038C8: 69BFBE88
	v_cmp_le_i32_e64 s[36:37], v224, v28                       // 0000000038CC: D0C30024 000239E0
	s_nop 0                                                    // 0000000038D4: BF800000
	v_cndmask_b32_e64 v49, v31, v49, s[36:37]                  // 0000000038D8: D1000031 0092631F
	v_add_u32_e32 v224, 8, v224                                // 0000000038E0: 69C1C088
	v_cmp_le_i32_e64 s[36:37], v225, v28                       // 0000000038E4: D0C30024 000239E1
	s_nop 0                                                    // 0000000038EC: BF800000
	v_cndmask_b32_e64 v50, v31, v50, s[36:37]                  // 0000000038F0: D1000032 0092651F
	v_add_u32_e32 v225, 8, v225                                // 0000000038F8: 69C3C288
	v_cmp_le_i32_e64 s[36:37], v226, v28                       // 0000000038FC: D0C30024 000239E2
	s_nop 0                                                    // 000000003904: BF800000
	v_cndmask_b32_e64 v51, v31, v51, s[36:37]                  // 000000003908: D1000033 0092671F
	v_add_u32_e32 v226, 8, v226                                // 000000003910: 69C5C488
	v_cmp_le_i32_e64 s[36:37], v223, v28                       // 000000003914: D0C30024 000239DF
	s_nop 0                                                    // 00000000391C: BF800000
	v_cndmask_b32_e64 v52, v31, v52, s[36:37]                  // 000000003920: D1000034 0092691F
	v_add_u32_e32 v223, 8, v223                                // 000000003928: 69BFBE88
	v_cmp_le_i32_e64 s[36:37], v224, v28                       // 00000000392C: D0C30024 000239E0
	s_nop 0                                                    // 000000003934: BF800000
	v_cndmask_b32_e64 v53, v31, v53, s[36:37]                  // 000000003938: D1000035 00926B1F
	v_add_u32_e32 v224, 8, v224                                // 000000003940: 69C1C088
	v_cmp_le_i32_e64 s[36:37], v225, v28                       // 000000003944: D0C30024 000239E1
	s_nop 0                                                    // 00000000394C: BF800000
	v_cndmask_b32_e64 v54, v31, v54, s[36:37]                  // 000000003950: D1000036 00926D1F
	v_add_u32_e32 v225, 8, v225                                // 000000003958: 69C3C288
	v_cmp_le_i32_e64 s[36:37], v226, v28                       // 00000000395C: D0C30024 000239E2
	s_nop 0                                                    // 000000003964: BF800000
	v_cndmask_b32_e64 v55, v31, v55, s[36:37]                  // 000000003968: D1000037 00926F1F
	v_add_u32_e32 v226, 8, v226                                // 000000003970: 69C5C488
	v_cmp_le_i32_e64 s[36:37], v223, v28                       // 000000003974: D0C30024 000239DF
	s_nop 0                                                    // 00000000397C: BF800000
	v_cndmask_b32_e64 v56, v31, v56, s[36:37]                  // 000000003980: D1000038 0092711F
	v_add_u32_e32 v223, 8, v223                                // 000000003988: 69BFBE88
	v_cmp_le_i32_e64 s[36:37], v224, v28                       // 00000000398C: D0C30024 000239E0
	s_nop 0                                                    // 000000003994: BF800000
	v_cndmask_b32_e64 v57, v31, v57, s[36:37]                  // 000000003998: D1000039 0092731F
	v_add_u32_e32 v224, 8, v224                                // 0000000039A0: 69C1C088
	v_cmp_le_i32_e64 s[36:37], v225, v28                       // 0000000039A4: D0C30024 000239E1
	s_nop 0                                                    // 0000000039AC: BF800000
	v_cndmask_b32_e64 v58, v31, v58, s[36:37]                  // 0000000039B0: D100003A 0092751F
	v_add_u32_e32 v225, 8, v225                                // 0000000039B8: 69C3C288
	v_cmp_le_i32_e64 s[36:37], v226, v28                       // 0000000039BC: D0C30024 000239E2
	s_nop 0                                                    // 0000000039C4: BF800000
	v_cndmask_b32_e64 v59, v31, v59, s[36:37]                  // 0000000039C8: D100003B 0092771F
	v_add_u32_e32 v226, 8, v226                                // 0000000039D0: 69C5C488
	v_cmp_le_i32_e64 s[36:37], v223, v28                       // 0000000039D4: D0C30024 000239DF
	s_nop 0                                                    // 0000000039DC: BF800000
	v_cndmask_b32_e64 v60, v31, v60, s[36:37]                  // 0000000039E0: D100003C 0092791F
	v_add_u32_e32 v223, 8, v223                                // 0000000039E8: 69BFBE88
	v_cmp_le_i32_e64 s[36:37], v224, v28                       // 0000000039EC: D0C30024 000239E0
	s_nop 0                                                    // 0000000039F4: BF800000
	v_cndmask_b32_e64 v61, v31, v61, s[36:37]                  // 0000000039F8: D100003D 00927B1F
	v_add_u32_e32 v224, 8, v224                                // 000000003A00: 69C1C088
	v_cmp_le_i32_e64 s[36:37], v225, v28                       // 000000003A04: D0C30024 000239E1
	s_nop 0                                                    // 000000003A0C: BF800000
	v_cndmask_b32_e64 v62, v31, v62, s[36:37]                  // 000000003A10: D100003E 00927D1F
	v_add_u32_e32 v225, 8, v225                                // 000000003A18: 69C3C288
	v_cmp_le_i32_e64 s[36:37], v226, v28                       // 000000003A1C: D0C30024 000239E2
	s_nop 0                                                    // 000000003A24: BF800000
	v_cndmask_b32_e64 v63, v31, v63, s[36:37]                  // 000000003A28: D100003F 00927F1F
	v_add_u32_e32 v226, 8, v226                                // 000000003A30: 69C5C488

0000000000003a34 <label_1734>:
	s_add_u32 s83, s84, s83                                    // 000000003A34: 80535354
	s_nop 2                                                    // 000000003A38: BF800002
	v_mov_b32_e32 v29, v32                                     // 000000003A3C: 7E3A0320
	v_max3_f32 v29, v32, v33, v29                              // 000000003A40: D1D3001D 04764320
	v_max3_f32 v29, v34, v35, v29                              // 000000003A48: D1D3001D 04764722
	v_max3_f32 v29, v36, v37, v29                              // 000000003A50: D1D3001D 04764B24
	v_max3_f32 v29, v38, v39, v29                              // 000000003A58: D1D3001D 04764F26
	v_max3_f32 v29, v40, v41, v29                              // 000000003A60: D1D3001D 04765328
	v_max3_f32 v29, v42, v43, v29                              // 000000003A68: D1D3001D 0476572A
	v_max3_f32 v29, v44, v45, v29                              // 000000003A70: D1D3001D 04765B2C
	v_max3_f32 v29, v46, v47, v29                              // 000000003A78: D1D3001D 04765F2E
	v_max3_f32 v29, v48, v49, v29                              // 000000003A80: D1D3001D 04766330
	v_max3_f32 v29, v50, v51, v29                              // 000000003A88: D1D3001D 04766732
	v_max3_f32 v29, v52, v53, v29                              // 000000003A90: D1D3001D 04766B34
	v_max3_f32 v29, v54, v55, v29                              // 000000003A98: D1D3001D 04766F36
	v_max3_f32 v29, v56, v57, v29                              // 000000003AA0: D1D3001D 04767338
	v_max3_f32 v29, v58, v59, v29                              // 000000003AA8: D1D3001D 0476773A
	v_max3_f32 v29, v60, v61, v29                              // 000000003AB0: D1D3001D 04767B3C
	v_max3_f32 v29, v62, v63, v29                              // 000000003AB8: D1D3001D 04767F3E
	v_mov_b32_e32 v28, v29                                     // 000000003AC0: 7E38031D
	v_mov_b32_e32 v29, v29                                     // 000000003AC4: 7E3A031D
	s_nop 1                                                    // 000000003AC8: BF800001
	v_permlane32_swap_b32_e32 v28, v29                         // 000000003ACC: 7E38B51D
	v_max3_f32 v29, v28, v29, v29                              // 000000003AD0: D1D3001D 04763B1C
	v_mov_b32_e32 v28, 0xff800000                              // 000000003AD8: 7E3802FF FF800000
	v_cmp_eq_u32_e64 s[36:37], v28, v2                         // 000000003AE0: D0CA0024 0002051C
	v_max_f32_e32 v29, v29, v2                                 // 000000003AE8: 163A051D
	v_sub_f32_e32 v17, v2, v29                                 // 000000003AEC: 04223B02
	v_cndmask_b32_e64 v17, v17, 0, s[36:37]                    // 000000003AF0: D1000011 00910111
	v_mov_b32_e32 v2, v29                                      // 000000003AF8: 7E04031D
	v_mul_f32_e32 v29, s5, v29                                 // 000000003AFC: 0A3A3A05
	v_mul_f32_e32 v17, s5, v17                                 // 000000003B00: 0A222205
	v_exp_f32_e32 v17, v17                                     // 000000003B04: 7E224111
	v_fma_f32 v32, v32, s5, -v29                               // 000000003B08: D1CB0020 84740B20
	v_fma_f32 v33, v33, s5, -v29                               // 000000003B10: D1CB0021 84740B21
	v_fma_f32 v34, v34, s5, -v29                               // 000000003B18: D1CB0022 84740B22
	v_fma_f32 v35, v35, s5, -v29                               // 000000003B20: D1CB0023 84740B23
	v_fma_f32 v36, v36, s5, -v29                               // 000000003B28: D1CB0024 84740B24
	v_fma_f32 v37, v37, s5, -v29                               // 000000003B30: D1CB0025 84740B25
	v_fma_f32 v38, v38, s5, -v29                               // 000000003B38: D1CB0026 84740B26
	v_fma_f32 v39, v39, s5, -v29                               // 000000003B40: D1CB0027 84740B27
	v_fma_f32 v40, v40, s5, -v29                               // 000000003B48: D1CB0028 84740B28
	v_fma_f32 v41, v41, s5, -v29                               // 000000003B50: D1CB0029 84740B29
	v_fma_f32 v42, v42, s5, -v29                               // 000000003B58: D1CB002A 84740B2A
	v_fma_f32 v43, v43, s5, -v29                               // 000000003B60: D1CB002B 84740B2B
	v_fma_f32 v44, v44, s5, -v29                               // 000000003B68: D1CB002C 84740B2C
	v_fma_f32 v45, v45, s5, -v29                               // 000000003B70: D1CB002D 84740B2D
	v_fma_f32 v46, v46, s5, -v29                               // 000000003B78: D1CB002E 84740B2E
	v_fma_f32 v47, v47, s5, -v29                               // 000000003B80: D1CB002F 84740B2F
	v_fma_f32 v48, v48, s5, -v29                               // 000000003B88: D1CB0030 84740B30
	v_fma_f32 v49, v49, s5, -v29                               // 000000003B90: D1CB0031 84740B31
	v_fma_f32 v50, v50, s5, -v29                               // 000000003B98: D1CB0032 84740B32
	v_fma_f32 v51, v51, s5, -v29                               // 000000003BA0: D1CB0033 84740B33
	v_fma_f32 v52, v52, s5, -v29                               // 000000003BA8: D1CB0034 84740B34
	v_fma_f32 v53, v53, s5, -v29                               // 000000003BB0: D1CB0035 84740B35
	v_fma_f32 v54, v54, s5, -v29                               // 000000003BB8: D1CB0036 84740B36
	v_fma_f32 v55, v55, s5, -v29                               // 000000003BC0: D1CB0037 84740B37
	v_fma_f32 v56, v56, s5, -v29                               // 000000003BC8: D1CB0038 84740B38
	v_fma_f32 v57, v57, s5, -v29                               // 000000003BD0: D1CB0039 84740B39
	v_fma_f32 v58, v58, s5, -v29                               // 000000003BD8: D1CB003A 84740B3A
	v_fma_f32 v59, v59, s5, -v29                               // 000000003BE0: D1CB003B 84740B3B
	v_fma_f32 v60, v60, s5, -v29                               // 000000003BE8: D1CB003C 84740B3C
	v_fma_f32 v61, v61, s5, -v29                               // 000000003BF0: D1CB003D 84740B3D
	v_fma_f32 v62, v62, s5, -v29                               // 000000003BF8: D1CB003E 84740B3E
	v_fma_f32 v63, v63, s5, -v29                               // 000000003C00: D1CB003F 84740B3F
	v_exp_f32_e32 v32, v32                                     // 000000003C08: 7E404120
	v_exp_f32_e32 v33, v33                                     // 000000003C0C: 7E424121
	v_exp_f32_e32 v34, v34                                     // 000000003C10: 7E444122
	v_exp_f32_e32 v35, v35                                     // 000000003C14: 7E464123
	v_exp_f32_e32 v36, v36                                     // 000000003C18: 7E484124
	v_exp_f32_e32 v37, v37                                     // 000000003C1C: 7E4A4125
	v_exp_f32_e32 v38, v38                                     // 000000003C20: 7E4C4126
	v_exp_f32_e32 v39, v39                                     // 000000003C24: 7E4E4127
	v_exp_f32_e32 v40, v40                                     // 000000003C28: 7E504128
	v_exp_f32_e32 v41, v41                                     // 000000003C2C: 7E524129
	v_exp_f32_e32 v42, v42                                     // 000000003C30: 7E54412A
	v_exp_f32_e32 v43, v43                                     // 000000003C34: 7E56412B
	v_exp_f32_e32 v44, v44                                     // 000000003C38: 7E58412C
	v_exp_f32_e32 v45, v45                                     // 000000003C3C: 7E5A412D
	v_exp_f32_e32 v46, v46                                     // 000000003C40: 7E5C412E
	v_exp_f32_e32 v47, v47                                     // 000000003C44: 7E5E412F
	v_exp_f32_e32 v48, v48                                     // 000000003C48: 7E604130
	v_exp_f32_e32 v49, v49                                     // 000000003C4C: 7E624131
	v_exp_f32_e32 v50, v50                                     // 000000003C50: 7E644132
	v_exp_f32_e32 v51, v51                                     // 000000003C54: 7E664133
	v_exp_f32_e32 v52, v52                                     // 000000003C58: 7E684134
	v_exp_f32_e32 v53, v53                                     // 000000003C5C: 7E6A4135
	v_exp_f32_e32 v54, v54                                     // 000000003C60: 7E6C4136
	v_exp_f32_e32 v55, v55                                     // 000000003C64: 7E6E4137
	v_exp_f32_e32 v56, v56                                     // 000000003C68: 7E704138
	v_exp_f32_e32 v57, v57                                     // 000000003C6C: 7E724139
	v_exp_f32_e32 v58, v58                                     // 000000003C70: 7E74413A
	v_exp_f32_e32 v59, v59                                     // 000000003C74: 7E76413B
	v_exp_f32_e32 v60, v60                                     // 000000003C78: 7E78413C
	v_exp_f32_e32 v61, v61                                     // 000000003C7C: 7E7A413D
	v_exp_f32_e32 v62, v62                                     // 000000003C80: 7E7C413E
	v_exp_f32_e32 v63, v63                                     // 000000003C84: 7E7E413F
	v_mul_f32_e32 v4, v17, v4                                  // 000000003C88: 0A080911
	v_mov_b32_e32 v28, v32                                     // 000000003C8C: 7E380320
	v_add_f32_e32 v28, v33, v28                                // 000000003C90: 02383921
	v_add_f32_e32 v28, v34, v28                                // 000000003C94: 02383922
	v_add_f32_e32 v28, v35, v28                                // 000000003C98: 02383923
	v_add_f32_e32 v28, v36, v28                                // 000000003C9C: 02383924
	v_add_f32_e32 v28, v37, v28                                // 000000003CA0: 02383925
	v_add_f32_e32 v28, v38, v28                                // 000000003CA4: 02383926
	v_add_f32_e32 v28, v39, v28                                // 000000003CA8: 02383927
	v_add_f32_e32 v28, v40, v28                                // 000000003CAC: 02383928
	v_add_f32_e32 v28, v41, v28                                // 000000003CB0: 02383929
	v_add_f32_e32 v28, v42, v28                                // 000000003CB4: 0238392A
	v_add_f32_e32 v28, v43, v28                                // 000000003CB8: 0238392B
	v_add_f32_e32 v28, v44, v28                                // 000000003CBC: 0238392C
	v_add_f32_e32 v28, v45, v28                                // 000000003CC0: 0238392D
	v_add_f32_e32 v28, v46, v28                                // 000000003CC4: 0238392E
	v_add_f32_e32 v28, v47, v28                                // 000000003CC8: 0238392F
	v_add_f32_e32 v28, v48, v28                                // 000000003CCC: 02383930
	v_add_f32_e32 v28, v49, v28                                // 000000003CD0: 02383931
	v_add_f32_e32 v28, v50, v28                                // 000000003CD4: 02383932
	v_add_f32_e32 v28, v51, v28                                // 000000003CD8: 02383933
	v_add_f32_e32 v28, v52, v28                                // 000000003CDC: 02383934
	v_add_f32_e32 v28, v53, v28                                // 000000003CE0: 02383935
	v_add_f32_e32 v28, v54, v28                                // 000000003CE4: 02383936
	v_add_f32_e32 v28, v55, v28                                // 000000003CE8: 02383937
	v_add_f32_e32 v28, v56, v28                                // 000000003CEC: 02383938
	v_add_f32_e32 v28, v57, v28                                // 000000003CF0: 02383939
	v_add_f32_e32 v28, v58, v28                                // 000000003CF4: 0238393A
	v_add_f32_e32 v28, v59, v28                                // 000000003CF8: 0238393B
	v_add_f32_e32 v28, v60, v28                                // 000000003CFC: 0238393C
	v_add_f32_e32 v28, v61, v28                                // 000000003D00: 0238393D
	v_add_f32_e32 v28, v62, v28                                // 000000003D04: 0238393E
	v_add_f32_e32 v28, v63, v28                                // 000000003D08: 0238393F
	v_add_f32_e32 v4, v28, v4                                  // 000000003D0C: 0208091C
	v_cvt_pk_fp8_f32 v32, v32, v33                             // 000000003D10: D2A20020 00024320
	v_cvt_pk_fp8_f32 v32, v34, v35 op_sel:[0,0,1]              // 000000003D18: D2A24020 00024722
	v_cvt_pk_fp8_f32 v33, v36, v37                             // 000000003D20: D2A20021 00024B24
	v_cvt_pk_fp8_f32 v33, v38, v39 op_sel:[0,0,1]              // 000000003D28: D2A24021 00024F26
	v_cvt_pk_fp8_f32 v34, v40, v41                             // 000000003D30: D2A20022 00025328
	v_cvt_pk_fp8_f32 v34, v42, v43 op_sel:[0,0,1]              // 000000003D38: D2A24022 0002572A
	v_cvt_pk_fp8_f32 v35, v44, v45                             // 000000003D40: D2A20023 00025B2C
	v_cvt_pk_fp8_f32 v35, v46, v47 op_sel:[0,0,1]              // 000000003D48: D2A24023 00025F2E
	v_cvt_pk_fp8_f32 v36, v48, v49                             // 000000003D50: D2A20024 00026330
	v_cvt_pk_fp8_f32 v36, v50, v51 op_sel:[0,0,1]              // 000000003D58: D2A24024 00026732
	v_cvt_pk_fp8_f32 v37, v52, v53                             // 000000003D60: D2A20025 00026B34
	v_cvt_pk_fp8_f32 v37, v54, v55 op_sel:[0,0,1]              // 000000003D68: D2A24025 00026F36
	v_cvt_pk_fp8_f32 v38, v56, v57                             // 000000003D70: D2A20026 00027338
	v_cvt_pk_fp8_f32 v38, v58, v59 op_sel:[0,0,1]              // 000000003D78: D2A24026 0002773A
	v_cvt_pk_fp8_f32 v39, v60, v61                             // 000000003D80: D2A20027 00027B3C
	v_cvt_pk_fp8_f32 v39, v62, v63 op_sel:[0,0,1]              // 000000003D88: D2A24027 00027F3E
	v_permlane32_swap_b32_e32 v32, v34                         // 000000003D90: 7E40B522
	v_permlane32_swap_b32_e32 v33, v35                         // 000000003D94: 7E42B523
	v_swap_b32 v33, v34                                        // 000000003D98: 7E42A322
	v_permlane32_swap_b32_e32 v36, v38                         // 000000003D9C: 7E48B526
	v_permlane32_swap_b32_e32 v37, v39                         // 000000003DA0: 7E4AB527
	v_swap_b32 v37, v38                                        // 000000003DA4: 7E4AA326
	v_mov_b32_e32 v28, v17                                     // 000000003DA8: 7E380311
	v_mul_f32_e32 v64, v28, v64                                // 000000003DAC: 0A80811C
	v_mul_f32_e32 v65, v28, v65                                // 000000003DB0: 0A82831C
	v_mul_f32_e32 v66, v28, v66                                // 000000003DB4: 0A84851C
	v_mul_f32_e32 v67, v28, v67                                // 000000003DB8: 0A86871C
	v_mul_f32_e32 v68, v28, v68                                // 000000003DBC: 0A88891C
	v_mul_f32_e32 v69, v28, v69                                // 000000003DC0: 0A8A8B1C
	v_mul_f32_e32 v70, v28, v70                                // 000000003DC4: 0A8C8D1C
	v_mul_f32_e32 v71, v28, v71                                // 000000003DC8: 0A8E8F1C
	v_mul_f32_e32 v72, v28, v72                                // 000000003DCC: 0A90911C
	v_mul_f32_e32 v73, v28, v73                                // 000000003DD0: 0A92931C
	v_mul_f32_e32 v74, v28, v74                                // 000000003DD4: 0A94951C
	v_mul_f32_e32 v75, v28, v75                                // 000000003DD8: 0A96971C
	v_mul_f32_e32 v76, v28, v76                                // 000000003DDC: 0A98991C
	v_mul_f32_e32 v77, v28, v77                                // 000000003DE0: 0A9A9B1C
	v_mul_f32_e32 v78, v28, v78                                // 000000003DE4: 0A9C9D1C
	v_mul_f32_e32 v79, v28, v79                                // 000000003DE8: 0A9E9F1C
	v_mul_f32_e32 v80, v28, v80                                // 000000003DEC: 0AA0A11C
	v_mul_f32_e32 v81, v28, v81                                // 000000003DF0: 0AA2A31C
	v_mul_f32_e32 v82, v28, v82                                // 000000003DF4: 0AA4A51C
	v_mul_f32_e32 v83, v28, v83                                // 000000003DF8: 0AA6A71C
	v_mul_f32_e32 v84, v28, v84                                // 000000003DFC: 0AA8A91C
	v_mul_f32_e32 v85, v28, v85                                // 000000003E00: 0AAAAB1C
	v_mul_f32_e32 v86, v28, v86                                // 000000003E04: 0AACAD1C
	v_mul_f32_e32 v87, v28, v87                                // 000000003E08: 0AAEAF1C
	v_mul_f32_e32 v88, v28, v88                                // 000000003E0C: 0AB0B11C
	v_mul_f32_e32 v89, v28, v89                                // 000000003E10: 0AB2B31C
	v_mul_f32_e32 v90, v28, v90                                // 000000003E14: 0AB4B51C
	v_mul_f32_e32 v91, v28, v91                                // 000000003E18: 0AB6B71C
	v_mul_f32_e32 v92, v28, v92                                // 000000003E1C: 0AB8B91C
	v_mul_f32_e32 v93, v28, v93                                // 000000003E20: 0ABABB1C
	v_mul_f32_e32 v94, v28, v94                                // 000000003E24: 0ABCBD1C
	v_mul_f32_e32 v95, v28, v95                                // 000000003E28: 0ABEBF1C
	v_mul_f32_e32 v96, v28, v96                                // 000000003E2C: 0AC0C11C
	v_mul_f32_e32 v97, v28, v97                                // 000000003E30: 0AC2C31C
	v_mul_f32_e32 v98, v28, v98                                // 000000003E34: 0AC4C51C
	v_mul_f32_e32 v99, v28, v99                                // 000000003E38: 0AC6C71C
	v_mul_f32_e32 v100, v28, v100                              // 000000003E3C: 0AC8C91C
	v_mul_f32_e32 v101, v28, v101                              // 000000003E40: 0ACACB1C
	v_mul_f32_e32 v102, v28, v102                              // 000000003E44: 0ACCCD1C
	v_mul_f32_e32 v103, v28, v103                              // 000000003E48: 0ACECF1C
	v_mul_f32_e32 v104, v28, v104                              // 000000003E4C: 0AD0D11C
	v_mul_f32_e32 v105, v28, v105                              // 000000003E50: 0AD2D31C
	v_mul_f32_e32 v106, v28, v106                              // 000000003E54: 0AD4D51C
	v_mul_f32_e32 v107, v28, v107                              // 000000003E58: 0AD6D71C
	v_mul_f32_e32 v108, v28, v108                              // 000000003E5C: 0AD8D91C
	v_mul_f32_e32 v109, v28, v109                              // 000000003E60: 0ADADB1C
	v_mul_f32_e32 v110, v28, v110                              // 000000003E64: 0ADCDD1C
	v_mul_f32_e32 v111, v28, v111                              // 000000003E68: 0ADEDF1C
	v_mul_f32_e32 v112, v28, v112                              // 000000003E6C: 0AE0E11C
	v_mul_f32_e32 v113, v28, v113                              // 000000003E70: 0AE2E31C
	v_mul_f32_e32 v114, v28, v114                              // 000000003E74: 0AE4E51C
	v_mul_f32_e32 v115, v28, v115                              // 000000003E78: 0AE6E71C
	v_mul_f32_e32 v116, v28, v116                              // 000000003E7C: 0AE8E91C
	v_mul_f32_e32 v117, v28, v117                              // 000000003E80: 0AEAEB1C
	v_mul_f32_e32 v118, v28, v118                              // 000000003E84: 0AECED1C
	v_mul_f32_e32 v119, v28, v119                              // 000000003E88: 0AEEEF1C
	v_mul_f32_e32 v120, v28, v120                              // 000000003E8C: 0AF0F11C
	v_mul_f32_e32 v121, v28, v121                              // 000000003E90: 0AF2F31C
	v_mul_f32_e32 v122, v28, v122                              // 000000003E94: 0AF4F51C
	v_mul_f32_e32 v123, v28, v123                              // 000000003E98: 0AF6F71C
	v_mul_f32_e32 v124, v28, v124                              // 000000003E9C: 0AF8F91C
	v_mul_f32_e32 v125, v28, v125                              // 000000003EA0: 0AFAFB1C
	v_mul_f32_e32 v126, v28, v126                              // 000000003EA4: 0AFCFD1C
	v_mul_f32_e32 v127, v28, v127                              // 000000003EA8: 0AFEFF1C
	v_mul_f32_e32 v128, v28, v128                              // 000000003EAC: 0B01011C
	v_mul_f32_e32 v129, v28, v129                              // 000000003EB0: 0B03031C
	v_mul_f32_e32 v130, v28, v130                              // 000000003EB4: 0B05051C
	v_mul_f32_e32 v131, v28, v131                              // 000000003EB8: 0B07071C
	v_mul_f32_e32 v132, v28, v132                              // 000000003EBC: 0B09091C
	v_mul_f32_e32 v133, v28, v133                              // 000000003EC0: 0B0B0B1C
	v_mul_f32_e32 v134, v28, v134                              // 000000003EC4: 0B0D0D1C
	v_mul_f32_e32 v135, v28, v135                              // 000000003EC8: 0B0F0F1C
	v_mul_f32_e32 v136, v28, v136                              // 000000003ECC: 0B11111C
	v_mul_f32_e32 v137, v28, v137                              // 000000003ED0: 0B13131C
	v_mul_f32_e32 v138, v28, v138                              // 000000003ED4: 0B15151C
	v_mul_f32_e32 v139, v28, v139                              // 000000003ED8: 0B17171C
	v_mul_f32_e32 v140, v28, v140                              // 000000003EDC: 0B19191C
	v_mul_f32_e32 v141, v28, v141                              // 000000003EE0: 0B1B1B1C
	v_mul_f32_e32 v142, v28, v142                              // 000000003EE4: 0B1D1D1C
	v_mul_f32_e32 v143, v28, v143                              // 000000003EE8: 0B1F1F1C
	v_mul_f32_e32 v144, v28, v144                              // 000000003EEC: 0B21211C
	v_mul_f32_e32 v145, v28, v145                              // 000000003EF0: 0B23231C
	v_mul_f32_e32 v146, v28, v146                              // 000000003EF4: 0B25251C
	v_mul_f32_e32 v147, v28, v147                              // 000000003EF8: 0B27271C
	v_mul_f32_e32 v148, v28, v148                              // 000000003EFC: 0B29291C
	v_mul_f32_e32 v149, v28, v149                              // 000000003F00: 0B2B2B1C
	v_mul_f32_e32 v150, v28, v150                              // 000000003F04: 0B2D2D1C
	v_mul_f32_e32 v151, v28, v151                              // 000000003F08: 0B2F2F1C
	v_mul_f32_e32 v152, v28, v152                              // 000000003F0C: 0B31311C
	v_mul_f32_e32 v153, v28, v153                              // 000000003F10: 0B33331C
	v_mul_f32_e32 v154, v28, v154                              // 000000003F14: 0B35351C
	v_mul_f32_e32 v155, v28, v155                              // 000000003F18: 0B37371C
	v_mul_f32_e32 v156, v28, v156                              // 000000003F1C: 0B39391C
	v_mul_f32_e32 v157, v28, v157                              // 000000003F20: 0B3B3B1C
	v_mul_f32_e32 v158, v28, v158                              // 000000003F24: 0B3D3D1C
	v_mul_f32_e32 v159, v28, v159                              // 000000003F28: 0B3F3F1C
	v_mul_f32_e32 v160, v28, v160                              // 000000003F2C: 0B41411C
	v_mul_f32_e32 v161, v28, v161                              // 000000003F30: 0B43431C
	v_mul_f32_e32 v162, v28, v162                              // 000000003F34: 0B45451C
	v_mul_f32_e32 v163, v28, v163                              // 000000003F38: 0B47471C
	v_mul_f32_e32 v164, v28, v164                              // 000000003F3C: 0B49491C
	v_mul_f32_e32 v165, v28, v165                              // 000000003F40: 0B4B4B1C
	v_mul_f32_e32 v166, v28, v166                              // 000000003F44: 0B4D4D1C
	v_mul_f32_e32 v167, v28, v167                              // 000000003F48: 0B4F4F1C
	v_mul_f32_e32 v168, v28, v168                              // 000000003F4C: 0B51511C
	v_mul_f32_e32 v169, v28, v169                              // 000000003F50: 0B53531C
	v_mul_f32_e32 v170, v28, v170                              // 000000003F54: 0B55551C
	v_mul_f32_e32 v171, v28, v171                              // 000000003F58: 0B57571C
	v_mul_f32_e32 v172, v28, v172                              // 000000003F5C: 0B59591C
	v_mul_f32_e32 v173, v28, v173                              // 000000003F60: 0B5B5B1C
	v_mul_f32_e32 v174, v28, v174                              // 000000003F64: 0B5D5D1C
	v_mul_f32_e32 v175, v28, v175                              // 000000003F68: 0B5F5F1C
	v_mul_f32_e32 v176, v28, v176                              // 000000003F6C: 0B61611C
	v_mul_f32_e32 v177, v28, v177                              // 000000003F70: 0B63631C
	v_mul_f32_e32 v178, v28, v178                              // 000000003F74: 0B65651C
	v_mul_f32_e32 v179, v28, v179                              // 000000003F78: 0B67671C
	v_mul_f32_e32 v180, v28, v180                              // 000000003F7C: 0B69691C
	v_mul_f32_e32 v181, v28, v181                              // 000000003F80: 0B6B6B1C
	v_mul_f32_e32 v182, v28, v182                              // 000000003F84: 0B6D6D1C
	v_mul_f32_e32 v183, v28, v183                              // 000000003F88: 0B6F6F1C
	v_mul_f32_e32 v184, v28, v184                              // 000000003F8C: 0B71711C
	v_mul_f32_e32 v185, v28, v185                              // 000000003F90: 0B73731C
	v_mul_f32_e32 v186, v28, v186                              // 000000003F94: 0B75751C
	v_mul_f32_e32 v187, v28, v187                              // 000000003F98: 0B77771C
	v_mul_f32_e32 v188, v28, v188                              // 000000003F9C: 0B79791C
	v_mul_f32_e32 v189, v28, v189                              // 000000003FA0: 0B7B7B1C
	v_mul_f32_e32 v190, v28, v190                              // 000000003FA4: 0B7D7D1C
	v_mul_f32_e32 v191, v28, v191                              // 000000003FA8: 0B7F7F1C
	v_mul_f32_e32 v192, v28, v192                              // 000000003FAC: 0B81811C
	v_mul_f32_e32 v193, v28, v193                              // 000000003FB0: 0B83831C
	v_mul_f32_e32 v194, v28, v194                              // 000000003FB4: 0B85851C
	v_mul_f32_e32 v195, v28, v195                              // 000000003FB8: 0B87871C
	v_mul_f32_e32 v196, v28, v196                              // 000000003FBC: 0B89891C
	v_mul_f32_e32 v197, v28, v197                              // 000000003FC0: 0B8B8B1C
	v_mul_f32_e32 v198, v28, v198                              // 000000003FC4: 0B8D8D1C
	v_mul_f32_e32 v199, v28, v199                              // 000000003FC8: 0B8F8F1C
	v_mul_f32_e32 v200, v28, v200                              // 000000003FCC: 0B91911C
	v_mul_f32_e32 v201, v28, v201                              // 000000003FD0: 0B93931C
	v_mul_f32_e32 v202, v28, v202                              // 000000003FD4: 0B95951C
	v_mul_f32_e32 v203, v28, v203                              // 000000003FD8: 0B97971C
	v_mul_f32_e32 v204, v28, v204                              // 000000003FDC: 0B99991C
	v_mul_f32_e32 v205, v28, v205                              // 000000003FE0: 0B9B9B1C
	v_mul_f32_e32 v206, v28, v206                              // 000000003FE4: 0B9D9D1C
	v_mul_f32_e32 v207, v28, v207                              // 000000003FE8: 0B9F9F1C
	v_mul_f32_e32 v208, v28, v208                              // 000000003FEC: 0BA1A11C
	v_mul_f32_e32 v209, v28, v209                              // 000000003FF0: 0BA3A31C
	v_mul_f32_e32 v210, v28, v210                              // 000000003FF4: 0BA5A51C
	v_mul_f32_e32 v211, v28, v211                              // 000000003FF8: 0BA7A71C
	v_mul_f32_e32 v212, v28, v212                              // 000000003FFC: 0BA9A91C
	v_mul_f32_e32 v213, v28, v213                              // 000000004000: 0BABAB1C
	v_mul_f32_e32 v214, v28, v214                              // 000000004004: 0BADAD1C
	v_mul_f32_e32 v215, v28, v215                              // 000000004008: 0BAFAF1C
	v_mul_f32_e32 v216, v28, v216                              // 00000000400C: 0BB1B11C
	v_mul_f32_e32 v217, v28, v217                              // 000000004010: 0BB3B31C
	v_mul_f32_e32 v218, v28, v218                              // 000000004014: 0BB5B51C
	v_mul_f32_e32 v219, v28, v219                              // 000000004018: 0BB7B71C
	v_mul_f32_e32 v220, v28, v220                              // 00000000401C: 0BB9B91C
	v_mul_f32_e32 v221, v28, v221                              // 000000004020: 0BBBBB1C
	v_mul_f32_e32 v222, v28, v222                              // 000000004024: 0BBDBD1C
	v_mul_f32_e32 v223, v28, v223                              // 000000004028: 0BBFBF1C
	v_accvgpr_read_b32 v29, a144                               // 00000000402C: D3D8401D 18000190
	v_mul_f32_e32 v29, v28, v29                                // 000000004034: 0A3A3B1C
	v_accvgpr_write_b32 a144, v29                              // 000000004038: D3D94090 1800011D
	v_accvgpr_read_b32 v29, a145                               // 000000004040: D3D8401D 18000191
	v_mul_f32_e32 v29, v28, v29                                // 000000004048: 0A3A3B1C
	v_accvgpr_write_b32 a145, v29                              // 00000000404C: D3D94091 1800011D
	v_accvgpr_read_b32 v29, a146                               // 000000004054: D3D8401D 18000192
	v_mul_f32_e32 v29, v28, v29                                // 00000000405C: 0A3A3B1C
	v_accvgpr_write_b32 a146, v29                              // 000000004060: D3D94092 1800011D
	v_accvgpr_read_b32 v29, a147                               // 000000004068: D3D8401D 18000193
	v_mul_f32_e32 v29, v28, v29                                // 000000004070: 0A3A3B1C
	v_accvgpr_write_b32 a147, v29                              // 000000004074: D3D94093 1800011D
	v_accvgpr_read_b32 v29, a148                               // 00000000407C: D3D8401D 18000194
	v_mul_f32_e32 v29, v28, v29                                // 000000004084: 0A3A3B1C
	v_accvgpr_write_b32 a148, v29                              // 000000004088: D3D94094 1800011D
	v_accvgpr_read_b32 v29, a149                               // 000000004090: D3D8401D 18000195
	v_mul_f32_e32 v29, v28, v29                                // 000000004098: 0A3A3B1C
	v_accvgpr_write_b32 a149, v29                              // 00000000409C: D3D94095 1800011D
	v_accvgpr_read_b32 v29, a150                               // 0000000040A4: D3D8401D 18000196
	v_mul_f32_e32 v29, v28, v29                                // 0000000040AC: 0A3A3B1C
	v_accvgpr_write_b32 a150, v29                              // 0000000040B0: D3D94096 1800011D
	v_accvgpr_read_b32 v29, a151                               // 0000000040B8: D3D8401D 18000197
	v_mul_f32_e32 v29, v28, v29                                // 0000000040C0: 0A3A3B1C
	v_accvgpr_write_b32 a151, v29                              // 0000000040C4: D3D94097 1800011D
	v_accvgpr_read_b32 v29, a152                               // 0000000040CC: D3D8401D 18000198
	v_mul_f32_e32 v29, v28, v29                                // 0000000040D4: 0A3A3B1C
	v_accvgpr_write_b32 a152, v29                              // 0000000040D8: D3D94098 1800011D
	v_accvgpr_read_b32 v29, a153                               // 0000000040E0: D3D8401D 18000199
	v_mul_f32_e32 v29, v28, v29                                // 0000000040E8: 0A3A3B1C
	v_accvgpr_write_b32 a153, v29                              // 0000000040EC: D3D94099 1800011D
	v_accvgpr_read_b32 v29, a154                               // 0000000040F4: D3D8401D 1800019A
	v_mul_f32_e32 v29, v28, v29                                // 0000000040FC: 0A3A3B1C
	v_accvgpr_write_b32 a154, v29                              // 000000004100: D3D9409A 1800011D
	v_accvgpr_read_b32 v29, a155                               // 000000004108: D3D8401D 1800019B
	v_mul_f32_e32 v29, v28, v29                                // 000000004110: 0A3A3B1C
	v_accvgpr_write_b32 a155, v29                              // 000000004114: D3D9409B 1800011D
	v_accvgpr_read_b32 v29, a156                               // 00000000411C: D3D8401D 1800019C
	v_mul_f32_e32 v29, v28, v29                                // 000000004124: 0A3A3B1C
	v_accvgpr_write_b32 a156, v29                              // 000000004128: D3D9409C 1800011D
	v_accvgpr_read_b32 v29, a157                               // 000000004130: D3D8401D 1800019D
	v_mul_f32_e32 v29, v28, v29                                // 000000004138: 0A3A3B1C
	v_accvgpr_write_b32 a157, v29                              // 00000000413C: D3D9409D 1800011D
	v_accvgpr_read_b32 v29, a158                               // 000000004144: D3D8401D 1800019E
	v_mul_f32_e32 v29, v28, v29                                // 00000000414C: 0A3A3B1C
	v_accvgpr_write_b32 a158, v29                              // 000000004150: D3D9409E 1800011D
	v_accvgpr_read_b32 v29, a159                               // 000000004158: D3D8401D 1800019F
	v_mul_f32_e32 v29, v28, v29                                // 000000004160: 0A3A3B1C
	v_accvgpr_write_b32 a159, v29                              // 000000004164: D3D9409F 1800011D
	v_accvgpr_read_b32 v29, a160                               // 00000000416C: D3D8401D 180001A0
	v_mul_f32_e32 v29, v28, v29                                // 000000004174: 0A3A3B1C
	v_accvgpr_write_b32 a160, v29                              // 000000004178: D3D940A0 1800011D
	v_accvgpr_read_b32 v29, a161                               // 000000004180: D3D8401D 180001A1
	v_mul_f32_e32 v29, v28, v29                                // 000000004188: 0A3A3B1C
	v_accvgpr_write_b32 a161, v29                              // 00000000418C: D3D940A1 1800011D
	v_accvgpr_read_b32 v29, a162                               // 000000004194: D3D8401D 180001A2
	v_mul_f32_e32 v29, v28, v29                                // 00000000419C: 0A3A3B1C
	v_accvgpr_write_b32 a162, v29                              // 0000000041A0: D3D940A2 1800011D
	v_accvgpr_read_b32 v29, a163                               // 0000000041A8: D3D8401D 180001A3
	v_mul_f32_e32 v29, v28, v29                                // 0000000041B0: 0A3A3B1C
	v_accvgpr_write_b32 a163, v29                              // 0000000041B4: D3D940A3 1800011D
	v_accvgpr_read_b32 v29, a164                               // 0000000041BC: D3D8401D 180001A4
	v_mul_f32_e32 v29, v28, v29                                // 0000000041C4: 0A3A3B1C
	v_accvgpr_write_b32 a164, v29                              // 0000000041C8: D3D940A4 1800011D
	v_accvgpr_read_b32 v29, a165                               // 0000000041D0: D3D8401D 180001A5
	v_mul_f32_e32 v29, v28, v29                                // 0000000041D8: 0A3A3B1C
	v_accvgpr_write_b32 a165, v29                              // 0000000041DC: D3D940A5 1800011D
	v_accvgpr_read_b32 v29, a166                               // 0000000041E4: D3D8401D 180001A6
	v_mul_f32_e32 v29, v28, v29                                // 0000000041EC: 0A3A3B1C
	v_accvgpr_write_b32 a166, v29                              // 0000000041F0: D3D940A6 1800011D
	v_accvgpr_read_b32 v29, a167                               // 0000000041F8: D3D8401D 180001A7
	v_mul_f32_e32 v29, v28, v29                                // 000000004200: 0A3A3B1C
	v_accvgpr_write_b32 a167, v29                              // 000000004204: D3D940A7 1800011D
	v_accvgpr_read_b32 v29, a168                               // 00000000420C: D3D8401D 180001A8
	v_mul_f32_e32 v29, v28, v29                                // 000000004214: 0A3A3B1C
	v_accvgpr_write_b32 a168, v29                              // 000000004218: D3D940A8 1800011D
	v_accvgpr_read_b32 v29, a169                               // 000000004220: D3D8401D 180001A9
	v_mul_f32_e32 v29, v28, v29                                // 000000004228: 0A3A3B1C
	v_accvgpr_write_b32 a169, v29                              // 00000000422C: D3D940A9 1800011D
	v_accvgpr_read_b32 v29, a170                               // 000000004234: D3D8401D 180001AA
	v_mul_f32_e32 v29, v28, v29                                // 00000000423C: 0A3A3B1C
	v_accvgpr_write_b32 a170, v29                              // 000000004240: D3D940AA 1800011D
	v_accvgpr_read_b32 v29, a171                               // 000000004248: D3D8401D 180001AB
	v_mul_f32_e32 v29, v28, v29                                // 000000004250: 0A3A3B1C
	v_accvgpr_write_b32 a171, v29                              // 000000004254: D3D940AB 1800011D
	v_accvgpr_read_b32 v29, a172                               // 00000000425C: D3D8401D 180001AC
	v_mul_f32_e32 v29, v28, v29                                // 000000004264: 0A3A3B1C
	v_accvgpr_write_b32 a172, v29                              // 000000004268: D3D940AC 1800011D
	v_accvgpr_read_b32 v29, a173                               // 000000004270: D3D8401D 180001AD
	v_mul_f32_e32 v29, v28, v29                                // 000000004278: 0A3A3B1C
	v_accvgpr_write_b32 a173, v29                              // 00000000427C: D3D940AD 1800011D
	v_accvgpr_read_b32 v29, a174                               // 000000004284: D3D8401D 180001AE
	v_mul_f32_e32 v29, v28, v29                                // 00000000428C: 0A3A3B1C
	v_accvgpr_write_b32 a174, v29                              // 000000004290: D3D940AE 1800011D
	v_accvgpr_read_b32 v29, a175                               // 000000004298: D3D8401D 180001AF
	v_mul_f32_e32 v29, v28, v29                                // 0000000042A0: 0A3A3B1C
	v_accvgpr_write_b32 a175, v29                              // 0000000042A4: D3D940AF 1800011D
	v_accvgpr_read_b32 v29, a176                               // 0000000042AC: D3D8401D 180001B0
	v_mul_f32_e32 v29, v28, v29                                // 0000000042B4: 0A3A3B1C
	v_accvgpr_write_b32 a176, v29                              // 0000000042B8: D3D940B0 1800011D
	v_accvgpr_read_b32 v29, a177                               // 0000000042C0: D3D8401D 180001B1
	v_mul_f32_e32 v29, v28, v29                                // 0000000042C8: 0A3A3B1C
	v_accvgpr_write_b32 a177, v29                              // 0000000042CC: D3D940B1 1800011D
	v_accvgpr_read_b32 v29, a178                               // 0000000042D4: D3D8401D 180001B2
	v_mul_f32_e32 v29, v28, v29                                // 0000000042DC: 0A3A3B1C
	v_accvgpr_write_b32 a178, v29                              // 0000000042E0: D3D940B2 1800011D
	v_accvgpr_read_b32 v29, a179                               // 0000000042E8: D3D8401D 180001B3
	v_mul_f32_e32 v29, v28, v29                                // 0000000042F0: 0A3A3B1C
	v_accvgpr_write_b32 a179, v29                              // 0000000042F4: D3D940B3 1800011D
	v_accvgpr_read_b32 v29, a180                               // 0000000042FC: D3D8401D 180001B4
	v_mul_f32_e32 v29, v28, v29                                // 000000004304: 0A3A3B1C
	v_accvgpr_write_b32 a180, v29                              // 000000004308: D3D940B4 1800011D
	v_accvgpr_read_b32 v29, a181                               // 000000004310: D3D8401D 180001B5
	v_mul_f32_e32 v29, v28, v29                                // 000000004318: 0A3A3B1C
	v_accvgpr_write_b32 a181, v29                              // 00000000431C: D3D940B5 1800011D
	v_accvgpr_read_b32 v29, a182                               // 000000004324: D3D8401D 180001B6
	v_mul_f32_e32 v29, v28, v29                                // 00000000432C: 0A3A3B1C
	v_accvgpr_write_b32 a182, v29                              // 000000004330: D3D940B6 1800011D
	v_accvgpr_read_b32 v29, a183                               // 000000004338: D3D8401D 180001B7
	v_mul_f32_e32 v29, v28, v29                                // 000000004340: 0A3A3B1C
	v_accvgpr_write_b32 a183, v29                              // 000000004344: D3D940B7 1800011D
	v_accvgpr_read_b32 v29, a184                               // 00000000434C: D3D8401D 180001B8
	v_mul_f32_e32 v29, v28, v29                                // 000000004354: 0A3A3B1C
	v_accvgpr_write_b32 a184, v29                              // 000000004358: D3D940B8 1800011D
	v_accvgpr_read_b32 v29, a185                               // 000000004360: D3D8401D 180001B9
	v_mul_f32_e32 v29, v28, v29                                // 000000004368: 0A3A3B1C
	v_accvgpr_write_b32 a185, v29                              // 00000000436C: D3D940B9 1800011D
	v_accvgpr_read_b32 v29, a186                               // 000000004374: D3D8401D 180001BA
	v_mul_f32_e32 v29, v28, v29                                // 00000000437C: 0A3A3B1C
	v_accvgpr_write_b32 a186, v29                              // 000000004380: D3D940BA 1800011D
	v_accvgpr_read_b32 v29, a187                               // 000000004388: D3D8401D 180001BB
	v_mul_f32_e32 v29, v28, v29                                // 000000004390: 0A3A3B1C
	v_accvgpr_write_b32 a187, v29                              // 000000004394: D3D940BB 1800011D
	v_accvgpr_read_b32 v29, a188                               // 00000000439C: D3D8401D 180001BC
	v_mul_f32_e32 v29, v28, v29                                // 0000000043A4: 0A3A3B1C
	v_accvgpr_write_b32 a188, v29                              // 0000000043A8: D3D940BC 1800011D
	v_accvgpr_read_b32 v29, a189                               // 0000000043B0: D3D8401D 180001BD
	v_mul_f32_e32 v29, v28, v29                                // 0000000043B8: 0A3A3B1C
	v_accvgpr_write_b32 a189, v29                              // 0000000043BC: D3D940BD 1800011D
	v_accvgpr_read_b32 v29, a190                               // 0000000043C4: D3D8401D 180001BE
	v_mul_f32_e32 v29, v28, v29                                // 0000000043CC: 0A3A3B1C
	v_accvgpr_write_b32 a190, v29                              // 0000000043D0: D3D940BE 1800011D
	v_accvgpr_read_b32 v29, a191                               // 0000000043D8: D3D8401D 180001BF
	v_mul_f32_e32 v29, v28, v29                                // 0000000043E0: 0A3A3B1C
	v_accvgpr_write_b32 a191, v29                              // 0000000043E4: D3D940BF 1800011D
	v_accvgpr_read_b32 v29, a192                               // 0000000043EC: D3D8401D 180001C0
	v_mul_f32_e32 v29, v28, v29                                // 0000000043F4: 0A3A3B1C
	v_accvgpr_write_b32 a192, v29                              // 0000000043F8: D3D940C0 1800011D
	v_accvgpr_read_b32 v29, a193                               // 000000004400: D3D8401D 180001C1
	v_mul_f32_e32 v29, v28, v29                                // 000000004408: 0A3A3B1C
	v_accvgpr_write_b32 a193, v29                              // 00000000440C: D3D940C1 1800011D
	v_accvgpr_read_b32 v29, a194                               // 000000004414: D3D8401D 180001C2
	v_mul_f32_e32 v29, v28, v29                                // 00000000441C: 0A3A3B1C
	v_accvgpr_write_b32 a194, v29                              // 000000004420: D3D940C2 1800011D
	v_accvgpr_read_b32 v29, a195                               // 000000004428: D3D8401D 180001C3
	v_mul_f32_e32 v29, v28, v29                                // 000000004430: 0A3A3B1C
	v_accvgpr_write_b32 a195, v29                              // 000000004434: D3D940C3 1800011D
	v_accvgpr_read_b32 v29, a196                               // 00000000443C: D3D8401D 180001C4
	v_mul_f32_e32 v29, v28, v29                                // 000000004444: 0A3A3B1C
	v_accvgpr_write_b32 a196, v29                              // 000000004448: D3D940C4 1800011D
	v_accvgpr_read_b32 v29, a197                               // 000000004450: D3D8401D 180001C5
	v_mul_f32_e32 v29, v28, v29                                // 000000004458: 0A3A3B1C
	v_accvgpr_write_b32 a197, v29                              // 00000000445C: D3D940C5 1800011D
	v_accvgpr_read_b32 v29, a198                               // 000000004464: D3D8401D 180001C6
	v_mul_f32_e32 v29, v28, v29                                // 00000000446C: 0A3A3B1C
	v_accvgpr_write_b32 a198, v29                              // 000000004470: D3D940C6 1800011D
	v_accvgpr_read_b32 v29, a199                               // 000000004478: D3D8401D 180001C7
	v_mul_f32_e32 v29, v28, v29                                // 000000004480: 0A3A3B1C
	v_accvgpr_write_b32 a199, v29                              // 000000004484: D3D940C7 1800011D
	v_accvgpr_read_b32 v29, a200                               // 00000000448C: D3D8401D 180001C8
	v_mul_f32_e32 v29, v28, v29                                // 000000004494: 0A3A3B1C
	v_accvgpr_write_b32 a200, v29                              // 000000004498: D3D940C8 1800011D
	v_accvgpr_read_b32 v29, a201                               // 0000000044A0: D3D8401D 180001C9
	v_mul_f32_e32 v29, v28, v29                                // 0000000044A8: 0A3A3B1C
	v_accvgpr_write_b32 a201, v29                              // 0000000044AC: D3D940C9 1800011D
	v_accvgpr_read_b32 v29, a202                               // 0000000044B4: D3D8401D 180001CA
	v_mul_f32_e32 v29, v28, v29                                // 0000000044BC: 0A3A3B1C
	v_accvgpr_write_b32 a202, v29                              // 0000000044C0: D3D940CA 1800011D
	v_accvgpr_read_b32 v29, a203                               // 0000000044C8: D3D8401D 180001CB
	v_mul_f32_e32 v29, v28, v29                                // 0000000044D0: 0A3A3B1C
	v_accvgpr_write_b32 a203, v29                              // 0000000044D4: D3D940CB 1800011D
	v_accvgpr_read_b32 v29, a204                               // 0000000044DC: D3D8401D 180001CC
	v_mul_f32_e32 v29, v28, v29                                // 0000000044E4: 0A3A3B1C
	v_accvgpr_write_b32 a204, v29                              // 0000000044E8: D3D940CC 1800011D
	v_accvgpr_read_b32 v29, a205                               // 0000000044F0: D3D8401D 180001CD
	v_mul_f32_e32 v29, v28, v29                                // 0000000044F8: 0A3A3B1C
	v_accvgpr_write_b32 a205, v29                              // 0000000044FC: D3D940CD 1800011D
	v_accvgpr_read_b32 v29, a206                               // 000000004504: D3D8401D 180001CE
	v_mul_f32_e32 v29, v28, v29                                // 00000000450C: 0A3A3B1C
	v_accvgpr_write_b32 a206, v29                              // 000000004510: D3D940CE 1800011D
	v_accvgpr_read_b32 v29, a207                               // 000000004518: D3D8401D 180001CF
	v_mul_f32_e32 v29, v28, v29                                // 000000004520: 0A3A3B1C
	v_accvgpr_write_b32 a207, v29                              // 000000004524: D3D940CF 1800011D
	v_accvgpr_read_b32 v29, a208                               // 00000000452C: D3D8401D 180001D0
	v_mul_f32_e32 v29, v28, v29                                // 000000004534: 0A3A3B1C
	v_accvgpr_write_b32 a208, v29                              // 000000004538: D3D940D0 1800011D
	v_accvgpr_read_b32 v29, a209                               // 000000004540: D3D8401D 180001D1
	v_mul_f32_e32 v29, v28, v29                                // 000000004548: 0A3A3B1C
	v_accvgpr_write_b32 a209, v29                              // 00000000454C: D3D940D1 1800011D
	v_accvgpr_read_b32 v29, a210                               // 000000004554: D3D8401D 180001D2
	v_mul_f32_e32 v29, v28, v29                                // 00000000455C: 0A3A3B1C
	v_accvgpr_write_b32 a210, v29                              // 000000004560: D3D940D2 1800011D
	v_accvgpr_read_b32 v29, a211                               // 000000004568: D3D8401D 180001D3
	v_mul_f32_e32 v29, v28, v29                                // 000000004570: 0A3A3B1C
	v_accvgpr_write_b32 a211, v29                              // 000000004574: D3D940D3 1800011D
	v_accvgpr_read_b32 v29, a212                               // 00000000457C: D3D8401D 180001D4
	v_mul_f32_e32 v29, v28, v29                                // 000000004584: 0A3A3B1C
	v_accvgpr_write_b32 a212, v29                              // 000000004588: D3D940D4 1800011D
	v_accvgpr_read_b32 v29, a213                               // 000000004590: D3D8401D 180001D5
	v_mul_f32_e32 v29, v28, v29                                // 000000004598: 0A3A3B1C
	v_accvgpr_write_b32 a213, v29                              // 00000000459C: D3D940D5 1800011D
	v_accvgpr_read_b32 v29, a214                               // 0000000045A4: D3D8401D 180001D6
	v_mul_f32_e32 v29, v28, v29                                // 0000000045AC: 0A3A3B1C
	v_accvgpr_write_b32 a214, v29                              // 0000000045B0: D3D940D6 1800011D
	v_accvgpr_read_b32 v29, a215                               // 0000000045B8: D3D8401D 180001D7
	v_mul_f32_e32 v29, v28, v29                                // 0000000045C0: 0A3A3B1C
	v_accvgpr_write_b32 a215, v29                              // 0000000045C4: D3D940D7 1800011D
	v_accvgpr_read_b32 v29, a216                               // 0000000045CC: D3D8401D 180001D8
	v_mul_f32_e32 v29, v28, v29                                // 0000000045D4: 0A3A3B1C
	v_accvgpr_write_b32 a216, v29                              // 0000000045D8: D3D940D8 1800011D
	v_accvgpr_read_b32 v29, a217                               // 0000000045E0: D3D8401D 180001D9
	v_mul_f32_e32 v29, v28, v29                                // 0000000045E8: 0A3A3B1C
	v_accvgpr_write_b32 a217, v29                              // 0000000045EC: D3D940D9 1800011D
	v_accvgpr_read_b32 v29, a218                               // 0000000045F4: D3D8401D 180001DA
	v_mul_f32_e32 v29, v28, v29                                // 0000000045FC: 0A3A3B1C
	v_accvgpr_write_b32 a218, v29                              // 000000004600: D3D940DA 1800011D
	v_accvgpr_read_b32 v29, a219                               // 000000004608: D3D8401D 180001DB
	v_mul_f32_e32 v29, v28, v29                                // 000000004610: 0A3A3B1C
	v_accvgpr_write_b32 a219, v29                              // 000000004614: D3D940DB 1800011D
	v_accvgpr_read_b32 v29, a220                               // 00000000461C: D3D8401D 180001DC
	v_mul_f32_e32 v29, v28, v29                                // 000000004624: 0A3A3B1C
	v_accvgpr_write_b32 a220, v29                              // 000000004628: D3D940DC 1800011D
	v_accvgpr_read_b32 v29, a221                               // 000000004630: D3D8401D 180001DD
	v_mul_f32_e32 v29, v28, v29                                // 000000004638: 0A3A3B1C
	v_accvgpr_write_b32 a221, v29                              // 00000000463C: D3D940DD 1800011D
	v_accvgpr_read_b32 v29, a222                               // 000000004644: D3D8401D 180001DE
	v_mul_f32_e32 v29, v28, v29                                // 00000000464C: 0A3A3B1C
	v_accvgpr_write_b32 a222, v29                              // 000000004650: D3D940DE 1800011D
	v_accvgpr_read_b32 v29, a223                               // 000000004658: D3D8401D 180001DF
	v_mul_f32_e32 v29, v28, v29                                // 000000004660: 0A3A3B1C
	v_accvgpr_write_b32 a223, v29                              // 000000004664: D3D940DF 1800011D
	v_accvgpr_read_b32 v29, a224                               // 00000000466C: D3D8401D 180001E0
	v_mul_f32_e32 v29, v28, v29                                // 000000004674: 0A3A3B1C
	v_accvgpr_write_b32 a224, v29                              // 000000004678: D3D940E0 1800011D
	v_accvgpr_read_b32 v29, a225                               // 000000004680: D3D8401D 180001E1
	v_mul_f32_e32 v29, v28, v29                                // 000000004688: 0A3A3B1C
	v_accvgpr_write_b32 a225, v29                              // 00000000468C: D3D940E1 1800011D
	v_accvgpr_read_b32 v29, a226                               // 000000004694: D3D8401D 180001E2
	v_mul_f32_e32 v29, v28, v29                                // 00000000469C: 0A3A3B1C
	v_accvgpr_write_b32 a226, v29                              // 0000000046A0: D3D940E2 1800011D
	v_accvgpr_read_b32 v29, a227                               // 0000000046A8: D3D8401D 180001E3
	v_mul_f32_e32 v29, v28, v29                                // 0000000046B0: 0A3A3B1C
	v_accvgpr_write_b32 a227, v29                              // 0000000046B4: D3D940E3 1800011D
	v_accvgpr_read_b32 v29, a228                               // 0000000046BC: D3D8401D 180001E4
	v_mul_f32_e32 v29, v28, v29                                // 0000000046C4: 0A3A3B1C
	v_accvgpr_write_b32 a228, v29                              // 0000000046C8: D3D940E4 1800011D
	v_accvgpr_read_b32 v29, a229                               // 0000000046D0: D3D8401D 180001E5
	v_mul_f32_e32 v29, v28, v29                                // 0000000046D8: 0A3A3B1C
	v_accvgpr_write_b32 a229, v29                              // 0000000046DC: D3D940E5 1800011D
	v_accvgpr_read_b32 v29, a230                               // 0000000046E4: D3D8401D 180001E6
	v_mul_f32_e32 v29, v28, v29                                // 0000000046EC: 0A3A3B1C
	v_accvgpr_write_b32 a230, v29                              // 0000000046F0: D3D940E6 1800011D
	v_accvgpr_read_b32 v29, a231                               // 0000000046F8: D3D8401D 180001E7
	v_mul_f32_e32 v29, v28, v29                                // 000000004700: 0A3A3B1C
	v_accvgpr_write_b32 a231, v29                              // 000000004704: D3D940E7 1800011D
	v_accvgpr_read_b32 v29, a232                               // 00000000470C: D3D8401D 180001E8
	v_mul_f32_e32 v29, v28, v29                                // 000000004714: 0A3A3B1C
	v_accvgpr_write_b32 a232, v29                              // 000000004718: D3D940E8 1800011D
	v_accvgpr_read_b32 v29, a233                               // 000000004720: D3D8401D 180001E9
	v_mul_f32_e32 v29, v28, v29                                // 000000004728: 0A3A3B1C
	v_accvgpr_write_b32 a233, v29                              // 00000000472C: D3D940E9 1800011D
	v_accvgpr_read_b32 v29, a234                               // 000000004734: D3D8401D 180001EA
	v_mul_f32_e32 v29, v28, v29                                // 00000000473C: 0A3A3B1C
	v_accvgpr_write_b32 a234, v29                              // 000000004740: D3D940EA 1800011D
	v_accvgpr_read_b32 v29, a235                               // 000000004748: D3D8401D 180001EB
	v_mul_f32_e32 v29, v28, v29                                // 000000004750: 0A3A3B1C
	v_accvgpr_write_b32 a235, v29                              // 000000004754: D3D940EB 1800011D
	v_accvgpr_read_b32 v29, a236                               // 00000000475C: D3D8401D 180001EC
	v_mul_f32_e32 v29, v28, v29                                // 000000004764: 0A3A3B1C
	v_accvgpr_write_b32 a236, v29                              // 000000004768: D3D940EC 1800011D
	v_accvgpr_read_b32 v29, a237                               // 000000004770: D3D8401D 180001ED
	v_mul_f32_e32 v29, v28, v29                                // 000000004778: 0A3A3B1C
	v_accvgpr_write_b32 a237, v29                              // 00000000477C: D3D940ED 1800011D
	v_accvgpr_read_b32 v29, a238                               // 000000004784: D3D8401D 180001EE
	v_mul_f32_e32 v29, v28, v29                                // 00000000478C: 0A3A3B1C
	v_accvgpr_write_b32 a238, v29                              // 000000004790: D3D940EE 1800011D
	v_accvgpr_read_b32 v29, a239                               // 000000004798: D3D8401D 180001EF
	v_mul_f32_e32 v29, v28, v29                                // 0000000047A0: 0A3A3B1C
	v_accvgpr_write_b32 a239, v29                              // 0000000047A4: D3D940EF 1800011D
	s_waitcnt lgkmcnt(0)                                       // 0000000047AC: BF8CC07F
	v_mfma_f32_32x32x64_f8f6f4 v[64:79], a[72:79], v[32:39], v[64:79]// 0000000047B0: D3AE0040 0D024148
	ds_read_b64_tr_b8 a[72:73], v9 offset:4096                 // 0000000047B8: DBC41000 48000009
	ds_read_b64_tr_b8 a[74:75], v10 offset:4096                // 0000000047C0: DBC41000 4A00000A
	ds_read_b64_tr_b8 a[76:77], v9 offset:22528                // 0000000047C8: DBC45800 4C000009
	ds_read_b64_tr_b8 a[78:79], v10 offset:22528               // 0000000047D0: DBC45800 4E00000A
	v_mfma_f32_32x32x64_f8f6f4 v[80:95], a[80:87], v[32:39], v[80:95]// 0000000047D8: D3AE0050 0D424150
	ds_read_b64_tr_b8 a[80:81], v11 offset:4096                // 0000000047E0: DBC41000 5000000B
	ds_read_b64_tr_b8 a[82:83], v12 offset:4096                // 0000000047E8: DBC41000 5200000C
	ds_read_b64_tr_b8 a[84:85], v11 offset:22528               // 0000000047F0: DBC45800 5400000B
	ds_read_b64_tr_b8 a[86:87], v12 offset:22528               // 0000000047F8: DBC45800 5600000C
	v_mfma_f32_32x32x64_f8f6f4 v[96:111], a[88:95], v[32:39], v[96:111]// 000000004800: D3AE0060 0D824158
	ds_read_b64_tr_b8 a[88:89], v9 offset:5120                 // 000000004808: DBC41400 58000009
	ds_read_b64_tr_b8 a[90:91], v10 offset:5120                // 000000004810: DBC41400 5A00000A
	ds_read_b64_tr_b8 a[92:93], v9 offset:23552                // 000000004818: DBC45C00 5C000009
	ds_read_b64_tr_b8 a[94:95], v10 offset:23552               // 000000004820: DBC45C00 5E00000A
	v_mfma_f32_32x32x64_f8f6f4 v[112:127], a[96:103], v[32:39], v[112:127]// 000000004828: D3AE0070 0DC24160
	ds_read_b64_tr_b8 a[96:97], v11 offset:5120                // 000000004830: DBC41400 6000000B
	ds_read_b64_tr_b8 a[98:99], v12 offset:5120                // 000000004838: DBC41400 6200000C
	ds_read_b64_tr_b8 a[100:101], v11 offset:23552             // 000000004840: DBC45C00 6400000B
	ds_read_b64_tr_b8 a[102:103], v12 offset:23552             // 000000004848: DBC45C00 6600000C
	v_mfma_f32_32x32x64_f8f6f4 v[128:143], a[104:111], v[32:39], v[128:143]// 000000004850: D3AE0080 0E024168
	ds_read_b64_tr_b8 a[104:105], v9 offset:6144               // 000000004858: DBC41800 68000009
	ds_read_b64_tr_b8 a[106:107], v10 offset:6144              // 000000004860: DBC41800 6A00000A
	ds_read_b64_tr_b8 a[108:109], v9 offset:24576              // 000000004868: DBC46000 6C000009
	ds_read_b64_tr_b8 a[110:111], v10 offset:24576             // 000000004870: DBC46000 6E00000A
	v_mfma_f32_32x32x64_f8f6f4 v[144:159], a[112:119], v[32:39], v[144:159]// 000000004878: D3AE0090 0E424170
	ds_read_b64_tr_b8 a[112:113], v11 offset:6144              // 000000004880: DBC41800 7000000B
	ds_read_b64_tr_b8 a[114:115], v12 offset:6144              // 000000004888: DBC41800 7200000C
	ds_read_b64_tr_b8 a[116:117], v11 offset:24576             // 000000004890: DBC46000 7400000B
	ds_read_b64_tr_b8 a[118:119], v12 offset:24576             // 000000004898: DBC46000 7600000C
	v_mfma_f32_32x32x64_f8f6f4 v[160:175], a[120:127], v[32:39], v[160:175]// 0000000048A0: D3AE00A0 0E824178
	ds_read_b64_tr_b8 a[120:121], v9 offset:7168               // 0000000048A8: DBC41C00 78000009
	ds_read_b64_tr_b8 a[122:123], v10 offset:7168              // 0000000048B0: DBC41C00 7A00000A
	ds_read_b64_tr_b8 a[124:125], v9 offset:25600              // 0000000048B8: DBC46400 7C000009
	ds_read_b64_tr_b8 a[126:127], v10 offset:25600             // 0000000048C0: DBC46400 7E00000A
	v_mfma_f32_32x32x64_f8f6f4 v[176:191], a[128:135], v[32:39], v[176:191]// 0000000048C8: D3AE00B0 0EC24180
	ds_read_b64_tr_b8 a[128:129], v11 offset:7168              // 0000000048D0: DBC41C00 8000000B
	ds_read_b64_tr_b8 a[130:131], v12 offset:7168              // 0000000048D8: DBC41C00 8200000C
	ds_read_b64_tr_b8 a[132:133], v11 offset:25600             // 0000000048E0: DBC46400 8400000B
	ds_read_b64_tr_b8 a[134:135], v12 offset:25600             // 0000000048E8: DBC46400 8600000C
	s_waitcnt lgkmcnt(0)                                       // 0000000048F0: BF8CC07F
	v_mfma_f32_32x32x64_f8f6f4 v[192:207], a[72:79], v[32:39], v[192:207]// 0000000048F4: D3AE00C0 0F024148
	v_mfma_f32_32x32x64_f8f6f4 v[208:223], a[80:87], v[32:39], v[208:223]// 0000000048FC: D3AE00D0 0F424150
	s_waitcnt vmcnt(10)                                        // 000000004904: BF8C0F7A
	s_barrier                                                  // 000000004908: BF8A0000
	ds_read_b128 a[72:75], v22                                 // 00000000490C: DBFE0000 48000016
	ds_read_b128 a[76:79], v23                                 // 000000004914: DBFE0000 4C000017
	v_mfma_f32_32x32x64_f8f6f4 a[144:159], a[88:95], v[32:39], a[144:159]// 00000000491C: D3AE8090 0E424158
	ds_read_b128 a[80:83], v22 offset:1024                     // 000000004924: DBFE0400 50000016
	ds_read_b128 a[84:87], v23 offset:1024                     // 00000000492C: DBFE0400 54000017
	v_mfma_f32_32x32x64_f8f6f4 a[160:175], a[96:103], v[32:39], a[160:175]// 000000004934: D3AE80A0 0E824160
	ds_read_b128 a[88:91], v22 offset:2048                     // 00000000493C: DBFE0800 58000016
	ds_read_b128 a[92:95], v23 offset:2048                     // 000000004944: DBFE0800 5C000017
	v_mfma_f32_32x32x64_f8f6f4 a[176:191], a[104:111], v[32:39], a[176:191]// 00000000494C: D3AE80B0 0EC24168
	ds_read_b128 a[96:99], v22 offset:3072                     // 000000004954: DBFE0C00 60000016
	ds_read_b128 a[100:103], v23 offset:3072                   // 00000000495C: DBFE0C00 64000017
	v_mfma_f32_32x32x64_f8f6f4 a[192:207], a[112:119], v[32:39], a[192:207]// 000000004964: D3AE80C0 0F024170
	ds_read_b128 a[104:107], v22 offset:4096                   // 00000000496C: DBFE1000 68000016
	ds_read_b128 a[108:111], v23 offset:4096                   // 000000004974: DBFE1000 6C000017
	v_mfma_f32_32x32x64_f8f6f4 a[208:223], a[120:127], v[32:39], a[208:223]// 00000000497C: D3AE80D0 0F424178
	ds_read_b128 a[112:115], v22 offset:5120                   // 000000004984: DBFE1400 70000016
	ds_read_b128 a[116:119], v23 offset:5120                   // 00000000498C: DBFE1400 74000017
	v_mfma_f32_32x32x64_f8f6f4 a[224:239], a[128:135], v[32:39], a[224:239]// 000000004994: D3AE80E0 0F824180
	ds_read_b128 a[120:123], v22 offset:6144                   // 00000000499C: DBFE1800 78000016
	ds_read_b128 a[124:127], v23 offset:6144                   // 0000000049A4: DBFE1800 7C000017
	ds_read_b128 a[128:131], v22 offset:7168                   // 0000000049AC: DBFE1C00 80000016
	ds_read_b128 a[132:135], v23 offset:7168                   // 0000000049B4: DBFE1C00 84000017
	ds_read_b128 a[136:139], v22 offset:8192                   // 0000000049BC: DBFE2000 88000016
	ds_read_b128 a[140:143], v23 offset:8192                   // 0000000049C4: DBFE2000 8C000017
	s_addk_i32 s70, 0x1                                        // 0000000049CC: B7460001
	s_cmp_lt_i32 s70, s71                                      // 0000000049D0: BF044746
	s_cbranch_scc0 label_529C                                  // 0000000049D4: BF840AF1
	s_waitcnt lgkmcnt(4)                                       // 0000000049D8: BF8CC47F
	v_mfma_f32_32x32x64_f8f6f4 v[32:47], a[72:79], a[0:7], 0   // 0000000049DC: D3AE0020 1A020148
	v_mul_u32_u24_e64 v31, v24, s68                            // 0000000049E4: D108001F 00008918
	v_add_u32_e32 v31, v31, v1                                 // 0000000049EC: 683E031F
	buffer_load_dword v26, v27, s[24:27], 0 offen              // 0000000049F0: E0501000 80061A1B
	v_mfma_f32_32x32x64_f8f6f4 v[32:47], a[80:87], a[8:15], v[32:47]// 0000000049F8: D3AE0020 1C821150
	s_mov_b32 s56, 0x14000                                     // 000000004A00: BEB800FF 00014000
	s_mul_i32 s57, s7, 0x2400                                  // 000000004A08: 9239FF07 00002400
	s_add_u32 m0, s56, s57                                     // 000000004A10: 807C3938
	buffer_load_dwordx4 v31, s[20:23], 0 offen lds             // 000000004A14: E05D1000 8005001F
	s_add_i32 m0, m0, 0x3c0                                    // 000000004A1C: 817CFF7C 000003C0
	v_mfma_f32_32x32x64_f8f6f4 v[32:47], a[88:95], a[16:23], v[32:47]// 000000004A24: D3AE0020 1C822158
	ds_read_b128 a[72:75], v22 offset:18432                    // 000000004A2C: DBFE4800 48000016
	ds_read_b128 a[76:79], v23 offset:18432                    // 000000004A34: DBFE4800 4C000017
	v_mfma_f32_32x32x64_f8f6f4 v[32:47], a[96:103], a[24:31], v[32:47]// 000000004A3C: D3AE0020 1C823160
	buffer_load_dwordx4 v31, s[20:23], 0 offen offset:64 lds   // 000000004A44: E05D1040 8005001F
	s_add_i32 m0, m0, 0x3c0                                    // 000000004A4C: 817CFF7C 000003C0
	ds_read_b128 a[80:83], v22 offset:19456                    // 000000004A54: DBFE4C00 50000016
	ds_read_b128 a[84:87], v23 offset:19456                    // 000000004A5C: DBFE4C00 54000017
	v_mfma_f32_32x32x64_f8f6f4 v[32:47], a[104:111], a[32:39], v[32:47]// 000000004A64: D3AE0020 1C824168
	ds_read_b128 a[88:91], v22 offset:20480                    // 000000004A6C: DBFE5000 58000016
	ds_read_b128 a[92:95], v23 offset:20480                    // 000000004A74: DBFE5000 5C000017
	v_mfma_f32_32x32x64_f8f6f4 v[32:47], a[112:119], a[40:47], v[32:47]// 000000004A7C: D3AE0020 1C825170
	buffer_load_dwordx4 v31, s[20:23], 0 offen offset:128 lds  // 000000004A84: E05D1080 8005001F
	s_add_i32 m0, m0, 0x3c0                                    // 000000004A8C: 817CFF7C 000003C0
	ds_read_b128 a[96:99], v22 offset:21504                    // 000000004A94: DBFE5400 60000016
	ds_read_b128 a[100:103], v23 offset:21504                  // 000000004A9C: DBFE5400 64000017
	v_mfma_f32_32x32x64_f8f6f4 v[32:47], a[120:127], a[48:55], v[32:47]// 000000004AA4: D3AE0020 1C826178
	ds_read_b128 a[104:107], v22 offset:22528                  // 000000004AAC: DBFE5800 68000016
	ds_read_b128 a[108:111], v23 offset:22528                  // 000000004AB4: DBFE5800 6C000017
	v_mfma_f32_32x32x64_f8f6f4 v[32:47], a[128:135], a[56:63], v[32:47]// 000000004ABC: D3AE0020 1C827180
	buffer_load_dwordx4 v31, s[20:23], 0 offen offset:192 lds  // 000000004AC4: E05D10C0 8005001F
	s_add_i32 m0, m0, 0x3c0                                    // 000000004ACC: 817CFF7C 000003C0
	ds_read_b128 a[112:115], v22 offset:23552                  // 000000004AD4: DBFE5C00 70000016
	ds_read_b128 a[116:119], v23 offset:23552                  // 000000004ADC: DBFE5C00 74000017
	v_mfma_f32_32x32x64_f8f6f4 v[32:47], a[136:143], a[64:71], v[32:47]// 000000004AE4: D3AE0020 1C828188
	ds_read_b128 a[120:123], v22 offset:24576                  // 000000004AEC: DBFE6000 78000016
	ds_read_b128 a[124:127], v23 offset:24576                  // 000000004AF4: DBFE6000 7C000017
	buffer_load_dwordx4 v31, s[20:23], 0 offen offset:256 lds  // 000000004AFC: E05D1100 8005001F
	s_add_i32 m0, m0, 0x3c0                                    // 000000004B04: 817CFF7C 000003C0
	buffer_load_dwordx4 v31, s[20:23], 0 offen offset:320 lds  // 000000004B0C: E05D1140 8005001F
	s_add_i32 m0, m0, 0x3c0                                    // 000000004B14: 817CFF7C 000003C0
	buffer_load_dwordx4 v31, s[20:23], 0 offen offset:384 lds  // 000000004B1C: E05D1180 8005001F
	s_add_i32 m0, m0, 0x3c0                                    // 000000004B24: 817CFF7C 000003C0
	buffer_load_dwordx4 v31, s[20:23], 0 offen offset:448 lds  // 000000004B2C: E05D11C0 8005001F
	s_add_i32 m0, m0, 0x3c0                                    // 000000004B34: 817CFF7C 000003C0
	buffer_load_dwordx4 v31, s[20:23], 0 offen offset:512 lds  // 000000004B3C: E05D1200 8005001F
	s_add_i32 m0, m0, 0x3c0                                    // 000000004B44: 817CFF7C 000003C0
	ds_read_b128 a[128:131], v22 offset:25600                  // 000000004B4C: DBFE6400 80000016
	ds_read_b128 a[132:135], v23 offset:25600                  // 000000004B54: DBFE6400 84000017
	ds_read_b128 a[136:139], v22 offset:26624                  // 000000004B5C: DBFE6800 88000016
	ds_read_b128 a[140:143], v23 offset:26624                  // 000000004B64: DBFE6800 8C000017
	v_add_u32_e32 v27, s73, v27                                // 000000004B6C: 68363649
	s_waitcnt lgkmcnt(4)                                       // 000000004B70: BF8CC47F
	v_mfma_f32_32x32x64_f8f6f4 v[48:63], a[72:79], a[0:7], 0   // 000000004B74: D3AE0030 1A020148
	v_mfma_f32_32x32x64_f8f6f4 v[48:63], a[80:87], a[8:15], v[48:63]// 000000004B7C: D3AE0030 1CC21150
	v_mfma_f32_32x32x64_f8f6f4 v[48:63], a[88:95], a[16:23], v[48:63]// 000000004B84: D3AE0030 1CC22158
	ds_read_b64_tr_b8 a[72:73], v13                            // 000000004B8C: DBC40000 4800000D
	ds_read_b64_tr_b8 a[74:75], v14                            // 000000004B94: DBC40000 4A00000E
	ds_read_b64_tr_b8 a[76:77], v13 offset:18432               // 000000004B9C: DBC44800 4C00000D
	ds_read_b64_tr_b8 a[78:79], v14 offset:18432               // 000000004BA4: DBC44800 4E00000E
	v_mfma_f32_32x32x64_f8f6f4 v[48:63], a[96:103], a[24:31], v[48:63]// 000000004BAC: D3AE0030 1CC23160
	ds_read_b64_tr_b8 a[80:81], v15                            // 000000004BB4: DBC40000 5000000F
	ds_read_b64_tr_b8 a[82:83], v16                            // 000000004BBC: DBC40000 52000010
	ds_read_b64_tr_b8 a[84:85], v15 offset:18432               // 000000004BC4: DBC44800 5400000F
	ds_read_b64_tr_b8 a[86:87], v16 offset:18432               // 000000004BCC: DBC44800 56000010
	v_mfma_f32_32x32x64_f8f6f4 v[48:63], a[104:111], a[32:39], v[48:63]// 000000004BD4: D3AE0030 1CC24168
	ds_read_b64_tr_b8 a[88:89], v13 offset:1024                // 000000004BDC: DBC40400 5800000D
	ds_read_b64_tr_b8 a[90:91], v14 offset:1024                // 000000004BE4: DBC40400 5A00000E
	ds_read_b64_tr_b8 a[92:93], v13 offset:19456               // 000000004BEC: DBC44C00 5C00000D
	ds_read_b64_tr_b8 a[94:95], v14 offset:19456               // 000000004BF4: DBC44C00 5E00000E
	v_mfma_f32_32x32x64_f8f6f4 v[48:63], a[112:119], a[40:47], v[48:63]// 000000004BFC: D3AE0030 1CC25170
	ds_read_b64_tr_b8 a[96:97], v15 offset:1024                // 000000004C04: DBC40400 6000000F
	ds_read_b64_tr_b8 a[98:99], v16 offset:1024                // 000000004C0C: DBC40400 62000010
	ds_read_b64_tr_b8 a[100:101], v15 offset:19456             // 000000004C14: DBC44C00 6400000F
	ds_read_b64_tr_b8 a[102:103], v16 offset:19456             // 000000004C1C: DBC44C00 66000010
	v_mfma_f32_32x32x64_f8f6f4 v[48:63], a[120:127], a[48:55], v[48:63]// 000000004C24: D3AE0030 1CC26178
	ds_read_b64_tr_b8 a[104:105], v13 offset:2048              // 000000004C2C: DBC40800 6800000D
	ds_read_b64_tr_b8 a[106:107], v14 offset:2048              // 000000004C34: DBC40800 6A00000E
	ds_read_b64_tr_b8 a[108:109], v13 offset:20480             // 000000004C3C: DBC45000 6C00000D
	ds_read_b64_tr_b8 a[110:111], v14 offset:20480             // 000000004C44: DBC45000 6E00000E
	v_mfma_f32_32x32x64_f8f6f4 v[48:63], a[128:135], a[56:63], v[48:63]// 000000004C4C: D3AE0030 1CC27180
	ds_read_b64_tr_b8 a[112:113], v15 offset:2048              // 000000004C54: DBC40800 7000000F
	ds_read_b64_tr_b8 a[114:115], v16 offset:2048              // 000000004C5C: DBC40800 72000010
	ds_read_b64_tr_b8 a[116:117], v15 offset:20480             // 000000004C64: DBC45000 7400000F
	ds_read_b64_tr_b8 a[118:119], v16 offset:20480             // 000000004C6C: DBC45000 76000010
	v_mfma_f32_32x32x64_f8f6f4 v[48:63], a[136:143], a[64:71], v[48:63]// 000000004C74: D3AE0030 1CC28188
	ds_read_b64_tr_b8 a[120:121], v13 offset:3072              // 000000004C7C: DBC40C00 7800000D
	ds_read_b64_tr_b8 a[122:123], v14 offset:3072              // 000000004C84: DBC40C00 7A00000E
	ds_read_b64_tr_b8 a[124:125], v13 offset:21504             // 000000004C8C: DBC45400 7C00000D
	ds_read_b64_tr_b8 a[126:127], v14 offset:21504             // 000000004C94: DBC45400 7E00000E
	ds_read_b64_tr_b8 a[128:129], v15 offset:3072              // 000000004C9C: DBC40C00 8000000F
	ds_read_b64_tr_b8 a[130:131], v16 offset:3072              // 000000004CA4: DBC40C00 82000010
	ds_read_b64_tr_b8 a[132:133], v15 offset:21504             // 000000004CAC: DBC45400 8400000F
	ds_read_b64_tr_b8 a[134:135], v16 offset:21504             // 000000004CB4: DBC45400 86000010
	s_cmp_le_i32 s83, s82                                      // 000000004CBC: BF055253
	s_cbranch_scc1 label_2D14                                  // 000000004CC0: BF8500D4
	v_mov_b32_e32 v28, s82                                     // 000000004CC4: 7E380252
	s_cmp_eq_i32 s81, 1                                        // 000000004CC8: BF008151
	s_cbranch_scc1 label_29F0                                  // 000000004CCC: BF850008
	s_cmp_eq_i32 s81, 2                                        // 000000004CD0: BF008251
	s_cbranch_scc1 label_29E4                                  // 000000004CD4: BF850003
	v_add_i32 v28, s7, v28                                     // 000000004CD8: D29C001C 00023807
	s_branch label_29F0                                        // 000000004CE0: BF820003

0000000000004ce4 <label_29E4>:
	s_lshr_b32 s56, s7, 1                                      // 000000004CE4: 8F388107
	v_add_u32_e32 v28, s56, v28                                // 000000004CE8: 68383838
	s_branch label_29F0                                        // 000000004CEC: BF820000

0000000000004cf0 <label_29F0>:
	s_sub_u32 s56, s83, 63                                     // 000000004CF0: 80B8BF53
	v_lshrrev_b32_e32 v223, 5, v0                              // 000000004CF4: 21BE0085
	v_mul_i32_i24_e32 v223, 4, v223                            // 000000004CF8: 0DBFBE84
	v_add_u32_e32 v223, s56, v223                              // 000000004CFC: 69BFBE38
	v_add_u32_e32 v224, 1, v223                                // 000000004D00: 69C1BE81
	v_add_u32_e32 v225, 2, v223                                // 000000004D04: 69C3BE82
	v_add_u32_e32 v226, 3, v223                                // 000000004D08: 69C5BE83
	v_mov_b32_e32 v31, 0xff800000                              // 000000004D0C: 7E3E02FF FF800000
	v_cmp_le_i32_e64 s[36:37], v223, v28                       // 000000004D14: D0C30024 000239DF
	s_nop 0                                                    // 000000004D1C: BF800000
	v_cndmask_b32_e64 v32, v31, v32, s[36:37]                  // 000000004D20: D1000020 0092411F
	v_add_u32_e32 v223, 8, v223                                // 000000004D28: 69BFBE88
	v_cmp_le_i32_e64 s[36:37], v224, v28                       // 000000004D2C: D0C30024 000239E0
	s_nop 0                                                    // 000000004D34: BF800000
	v_cndmask_b32_e64 v33, v31, v33, s[36:37]                  // 000000004D38: D1000021 0092431F
	v_add_u32_e32 v224, 8, v224                                // 000000004D40: 69C1C088
	v_cmp_le_i32_e64 s[36:37], v225, v28                       // 000000004D44: D0C30024 000239E1
	s_nop 0                                                    // 000000004D4C: BF800000
	v_cndmask_b32_e64 v34, v31, v34, s[36:37]                  // 000000004D50: D1000022 0092451F
	v_add_u32_e32 v225, 8, v225                                // 000000004D58: 69C3C288
	v_cmp_le_i32_e64 s[36:37], v226, v28                       // 000000004D5C: D0C30024 000239E2
	s_nop 0                                                    // 000000004D64: BF800000
	v_cndmask_b32_e64 v35, v31, v35, s[36:37]                  // 000000004D68: D1000023 0092471F
	v_add_u32_e32 v226, 8, v226                                // 000000004D70: 69C5C488
	v_cmp_le_i32_e64 s[36:37], v223, v28                       // 000000004D74: D0C30024 000239DF
	s_nop 0                                                    // 000000004D7C: BF800000
	v_cndmask_b32_e64 v36, v31, v36, s[36:37]                  // 000000004D80: D1000024 0092491F
	v_add_u32_e32 v223, 8, v223                                // 000000004D88: 69BFBE88
	v_cmp_le_i32_e64 s[36:37], v224, v28                       // 000000004D8C: D0C30024 000239E0
	s_nop 0                                                    // 000000004D94: BF800000
	v_cndmask_b32_e64 v37, v31, v37, s[36:37]                  // 000000004D98: D1000025 00924B1F
	v_add_u32_e32 v224, 8, v224                                // 000000004DA0: 69C1C088
	v_cmp_le_i32_e64 s[36:37], v225, v28                       // 000000004DA4: D0C30024 000239E1
	s_nop 0                                                    // 000000004DAC: BF800000
	v_cndmask_b32_e64 v38, v31, v38, s[36:37]                  // 000000004DB0: D1000026 00924D1F
	v_add_u32_e32 v225, 8, v225                                // 000000004DB8: 69C3C288
	v_cmp_le_i32_e64 s[36:37], v226, v28                       // 000000004DBC: D0C30024 000239E2
	s_nop 0                                                    // 000000004DC4: BF800000
	v_cndmask_b32_e64 v39, v31, v39, s[36:37]                  // 000000004DC8: D1000027 00924F1F
	v_add_u32_e32 v226, 8, v226                                // 000000004DD0: 69C5C488
	v_cmp_le_i32_e64 s[36:37], v223, v28                       // 000000004DD4: D0C30024 000239DF
	s_nop 0                                                    // 000000004DDC: BF800000
	v_cndmask_b32_e64 v40, v31, v40, s[36:37]                  // 000000004DE0: D1000028 0092511F
	v_add_u32_e32 v223, 8, v223                                // 000000004DE8: 69BFBE88
	v_cmp_le_i32_e64 s[36:37], v224, v28                       // 000000004DEC: D0C30024 000239E0
	s_nop 0                                                    // 000000004DF4: BF800000
	v_cndmask_b32_e64 v41, v31, v41, s[36:37]                  // 000000004DF8: D1000029 0092531F
	v_add_u32_e32 v224, 8, v224                                // 000000004E00: 69C1C088
	v_cmp_le_i32_e64 s[36:37], v225, v28                       // 000000004E04: D0C30024 000239E1
	s_nop 0                                                    // 000000004E0C: BF800000
	v_cndmask_b32_e64 v42, v31, v42, s[36:37]                  // 000000004E10: D100002A 0092551F
	v_add_u32_e32 v225, 8, v225                                // 000000004E18: 69C3C288
	v_cmp_le_i32_e64 s[36:37], v226, v28                       // 000000004E1C: D0C30024 000239E2
	s_nop 0                                                    // 000000004E24: BF800000
	v_cndmask_b32_e64 v43, v31, v43, s[36:37]                  // 000000004E28: D100002B 0092571F
	v_add_u32_e32 v226, 8, v226                                // 000000004E30: 69C5C488
	v_cmp_le_i32_e64 s[36:37], v223, v28                       // 000000004E34: D0C30024 000239DF
	s_nop 0                                                    // 000000004E3C: BF800000
	v_cndmask_b32_e64 v44, v31, v44, s[36:37]                  // 000000004E40: D100002C 0092591F
	v_add_u32_e32 v223, 8, v223                                // 000000004E48: 69BFBE88
	v_cmp_le_i32_e64 s[36:37], v224, v28                       // 000000004E4C: D0C30024 000239E0
	s_nop 0                                                    // 000000004E54: BF800000
	v_cndmask_b32_e64 v45, v31, v45, s[36:37]                  // 000000004E58: D100002D 00925B1F
	v_add_u32_e32 v224, 8, v224                                // 000000004E60: 69C1C088
	v_cmp_le_i32_e64 s[36:37], v225, v28                       // 000000004E64: D0C30024 000239E1
	s_nop 0                                                    // 000000004E6C: BF800000
	v_cndmask_b32_e64 v46, v31, v46, s[36:37]                  // 000000004E70: D100002E 00925D1F
	v_add_u32_e32 v225, 8, v225                                // 000000004E78: 69C3C288
	v_cmp_le_i32_e64 s[36:37], v226, v28                       // 000000004E7C: D0C30024 000239E2
	s_nop 0                                                    // 000000004E84: BF800000
	v_cndmask_b32_e64 v47, v31, v47, s[36:37]                  // 000000004E88: D100002F 00925F1F
	v_add_u32_e32 v226, 8, v226                                // 000000004E90: 69C5C488
	v_cmp_le_i32_e64 s[36:37], v223, v28                       // 000000004E94: D0C30024 000239DF
	s_nop 0                                                    // 000000004E9C: BF800000
	v_cndmask_b32_e64 v48, v31, v48, s[36:37]                  // 000000004EA0: D1000030 0092611F
	v_add_u32_e32 v223, 8, v223                                // 000000004EA8: 69BFBE88
	v_cmp_le_i32_e64 s[36:37], v224, v28                       // 000000004EAC: D0C30024 000239E0
	s_nop 0                                                    // 000000004EB4: BF800000
	v_cndmask_b32_e64 v49, v31, v49, s[36:37]                  // 000000004EB8: D1000031 0092631F
	v_add_u32_e32 v224, 8, v224                                // 000000004EC0: 69C1C088
	v_cmp_le_i32_e64 s[36:37], v225, v28                       // 000000004EC4: D0C30024 000239E1
	s_nop 0                                                    // 000000004ECC: BF800000
	v_cndmask_b32_e64 v50, v31, v50, s[36:37]                  // 000000004ED0: D1000032 0092651F
	v_add_u32_e32 v225, 8, v225                                // 000000004ED8: 69C3C288
	v_cmp_le_i32_e64 s[36:37], v226, v28                       // 000000004EDC: D0C30024 000239E2
	s_nop 0                                                    // 000000004EE4: BF800000
	v_cndmask_b32_e64 v51, v31, v51, s[36:37]                  // 000000004EE8: D1000033 0092671F
	v_add_u32_e32 v226, 8, v226                                // 000000004EF0: 69C5C488
	v_cmp_le_i32_e64 s[36:37], v223, v28                       // 000000004EF4: D0C30024 000239DF
	s_nop 0                                                    // 000000004EFC: BF800000
	v_cndmask_b32_e64 v52, v31, v52, s[36:37]                  // 000000004F00: D1000034 0092691F
	v_add_u32_e32 v223, 8, v223                                // 000000004F08: 69BFBE88
	v_cmp_le_i32_e64 s[36:37], v224, v28                       // 000000004F0C: D0C30024 000239E0
	s_nop 0                                                    // 000000004F14: BF800000
	v_cndmask_b32_e64 v53, v31, v53, s[36:37]                  // 000000004F18: D1000035 00926B1F
	v_add_u32_e32 v224, 8, v224                                // 000000004F20: 69C1C088
	v_cmp_le_i32_e64 s[36:37], v225, v28                       // 000000004F24: D0C30024 000239E1
	s_nop 0                                                    // 000000004F2C: BF800000
	v_cndmask_b32_e64 v54, v31, v54, s[36:37]                  // 000000004F30: D1000036 00926D1F
	v_add_u32_e32 v225, 8, v225                                // 000000004F38: 69C3C288
	v_cmp_le_i32_e64 s[36:37], v226, v28                       // 000000004F3C: D0C30024 000239E2
	s_nop 0                                                    // 000000004F44: BF800000
	v_cndmask_b32_e64 v55, v31, v55, s[36:37]                  // 000000004F48: D1000037 00926F1F
	v_add_u32_e32 v226, 8, v226                                // 000000004F50: 69C5C488
	v_cmp_le_i32_e64 s[36:37], v223, v28                       // 000000004F54: D0C30024 000239DF
	s_nop 0                                                    // 000000004F5C: BF800000
	v_cndmask_b32_e64 v56, v31, v56, s[36:37]                  // 000000004F60: D1000038 0092711F
	v_add_u32_e32 v223, 8, v223                                // 000000004F68: 69BFBE88
	v_cmp_le_i32_e64 s[36:37], v224, v28                       // 000000004F6C: D0C30024 000239E0
	s_nop 0                                                    // 000000004F74: BF800000
	v_cndmask_b32_e64 v57, v31, v57, s[36:37]                  // 000000004F78: D1000039 0092731F
	v_add_u32_e32 v224, 8, v224                                // 000000004F80: 69C1C088
	v_cmp_le_i32_e64 s[36:37], v225, v28                       // 000000004F84: D0C30024 000239E1
	s_nop 0                                                    // 000000004F8C: BF800000
	v_cndmask_b32_e64 v58, v31, v58, s[36:37]                  // 000000004F90: D100003A 0092751F
	v_add_u32_e32 v225, 8, v225                                // 000000004F98: 69C3C288
	v_cmp_le_i32_e64 s[36:37], v226, v28                       // 000000004F9C: D0C30024 000239E2
	s_nop 0                                                    // 000000004FA4: BF800000
	v_cndmask_b32_e64 v59, v31, v59, s[36:37]                  // 000000004FA8: D100003B 0092771F
	v_add_u32_e32 v226, 8, v226                                // 000000004FB0: 69C5C488
	v_cmp_le_i32_e64 s[36:37], v223, v28                       // 000000004FB4: D0C30024 000239DF
	s_nop 0                                                    // 000000004FBC: BF800000
	v_cndmask_b32_e64 v60, v31, v60, s[36:37]                  // 000000004FC0: D100003C 0092791F
	v_add_u32_e32 v223, 8, v223                                // 000000004FC8: 69BFBE88
	v_cmp_le_i32_e64 s[36:37], v224, v28                       // 000000004FCC: D0C30024 000239E0
	s_nop 0                                                    // 000000004FD4: BF800000
	v_cndmask_b32_e64 v61, v31, v61, s[36:37]                  // 000000004FD8: D100003D 00927B1F
	v_add_u32_e32 v224, 8, v224                                // 000000004FE0: 69C1C088
	v_cmp_le_i32_e64 s[36:37], v225, v28                       // 000000004FE4: D0C30024 000239E1
	s_nop 0                                                    // 000000004FEC: BF800000
	v_cndmask_b32_e64 v62, v31, v62, s[36:37]                  // 000000004FF0: D100003E 00927D1F
	v_add_u32_e32 v225, 8, v225                                // 000000004FF8: 69C3C288
	v_cmp_le_i32_e64 s[36:37], v226, v28                       // 000000004FFC: D0C30024 000239E2
	s_nop 0                                                    // 000000005004: BF800000
	v_cndmask_b32_e64 v63, v31, v63, s[36:37]                  // 000000005008: D100003F 00927F1F
	v_add_u32_e32 v226, 8, v226                                // 000000005010: 69C5C488

0000000000005014 <label_2D14>:
	s_add_u32 s83, s84, s83                                    // 000000005014: 80535354
	s_nop 2                                                    // 000000005018: BF800002
	v_mov_b32_e32 v29, v32                                     // 00000000501C: 7E3A0320
	v_max3_f32 v29, v32, v33, v29                              // 000000005020: D1D3001D 04764320
	v_max3_f32 v29, v34, v35, v29                              // 000000005028: D1D3001D 04764722
	v_max3_f32 v29, v36, v37, v29                              // 000000005030: D1D3001D 04764B24
	v_max3_f32 v29, v38, v39, v29                              // 000000005038: D1D3001D 04764F26
	v_max3_f32 v29, v40, v41, v29                              // 000000005040: D1D3001D 04765328
	v_max3_f32 v29, v42, v43, v29                              // 000000005048: D1D3001D 0476572A
	v_max3_f32 v29, v44, v45, v29                              // 000000005050: D1D3001D 04765B2C
	v_max3_f32 v29, v46, v47, v29                              // 000000005058: D1D3001D 04765F2E
	v_max3_f32 v29, v48, v49, v29                              // 000000005060: D1D3001D 04766330
	v_max3_f32 v29, v50, v51, v29                              // 000000005068: D1D3001D 04766732
	v_max3_f32 v29, v52, v53, v29                              // 000000005070: D1D3001D 04766B34
	v_max3_f32 v29, v54, v55, v29                              // 000000005078: D1D3001D 04766F36
	v_max3_f32 v29, v56, v57, v29                              // 000000005080: D1D3001D 04767338
	v_max3_f32 v29, v58, v59, v29                              // 000000005088: D1D3001D 0476773A
	v_max3_f32 v29, v60, v61, v29                              // 000000005090: D1D3001D 04767B3C
	v_max3_f32 v29, v62, v63, v29                              // 000000005098: D1D3001D 04767F3E
	v_mov_b32_e32 v28, v29                                     // 0000000050A0: 7E38031D
	v_mov_b32_e32 v29, v29                                     // 0000000050A4: 7E3A031D
	s_nop 1                                                    // 0000000050A8: BF800001
	v_permlane32_swap_b32_e32 v28, v29                         // 0000000050AC: 7E38B51D
	v_max3_f32 v29, v28, v29, v29                              // 0000000050B0: D1D3001D 04763B1C
	v_mov_b32_e32 v28, 0xff800000                              // 0000000050B8: 7E3802FF FF800000
	v_cmp_eq_u32_e64 s[36:37], v28, v2                         // 0000000050C0: D0CA0024 0002051C
	v_max_f32_e32 v29, v29, v2                                 // 0000000050C8: 163A051D
	v_sub_f32_e32 v17, v2, v29                                 // 0000000050CC: 04223B02
	v_cndmask_b32_e64 v17, v17, 0, s[36:37]                    // 0000000050D0: D1000011 00910111
	v_mov_b32_e32 v2, v29                                      // 0000000050D8: 7E04031D
	v_mul_f32_e32 v29, s5, v29                                 // 0000000050DC: 0A3A3A05
	v_mul_f32_e32 v17, s5, v17                                 // 0000000050E0: 0A222205
	v_exp_f32_e32 v17, v17                                     // 0000000050E4: 7E224111
	v_fma_f32 v32, v32, s5, -v29                               // 0000000050E8: D1CB0020 84740B20
	v_fma_f32 v33, v33, s5, -v29                               // 0000000050F0: D1CB0021 84740B21
	v_fma_f32 v34, v34, s5, -v29                               // 0000000050F8: D1CB0022 84740B22
	v_fma_f32 v35, v35, s5, -v29                               // 000000005100: D1CB0023 84740B23
	v_fma_f32 v36, v36, s5, -v29                               // 000000005108: D1CB0024 84740B24
	v_fma_f32 v37, v37, s5, -v29                               // 000000005110: D1CB0025 84740B25
	v_fma_f32 v38, v38, s5, -v29                               // 000000005118: D1CB0026 84740B26
	v_fma_f32 v39, v39, s5, -v29                               // 000000005120: D1CB0027 84740B27
	v_fma_f32 v40, v40, s5, -v29                               // 000000005128: D1CB0028 84740B28
	v_fma_f32 v41, v41, s5, -v29                               // 000000005130: D1CB0029 84740B29
	v_fma_f32 v42, v42, s5, -v29                               // 000000005138: D1CB002A 84740B2A
	v_fma_f32 v43, v43, s5, -v29                               // 000000005140: D1CB002B 84740B2B
	v_fma_f32 v44, v44, s5, -v29                               // 000000005148: D1CB002C 84740B2C
	v_fma_f32 v45, v45, s5, -v29                               // 000000005150: D1CB002D 84740B2D
	v_fma_f32 v46, v46, s5, -v29                               // 000000005158: D1CB002E 84740B2E
	v_fma_f32 v47, v47, s5, -v29                               // 000000005160: D1CB002F 84740B2F
	v_fma_f32 v48, v48, s5, -v29                               // 000000005168: D1CB0030 84740B30
	v_fma_f32 v49, v49, s5, -v29                               // 000000005170: D1CB0031 84740B31
	v_fma_f32 v50, v50, s5, -v29                               // 000000005178: D1CB0032 84740B32
	v_fma_f32 v51, v51, s5, -v29                               // 000000005180: D1CB0033 84740B33
	v_fma_f32 v52, v52, s5, -v29                               // 000000005188: D1CB0034 84740B34
	v_fma_f32 v53, v53, s5, -v29                               // 000000005190: D1CB0035 84740B35
	v_fma_f32 v54, v54, s5, -v29                               // 000000005198: D1CB0036 84740B36
	v_fma_f32 v55, v55, s5, -v29                               // 0000000051A0: D1CB0037 84740B37
	v_fma_f32 v56, v56, s5, -v29                               // 0000000051A8: D1CB0038 84740B38
	v_fma_f32 v57, v57, s5, -v29                               // 0000000051B0: D1CB0039 84740B39
	v_fma_f32 v58, v58, s5, -v29                               // 0000000051B8: D1CB003A 84740B3A
	v_fma_f32 v59, v59, s5, -v29                               // 0000000051C0: D1CB003B 84740B3B
	v_fma_f32 v60, v60, s5, -v29                               // 0000000051C8: D1CB003C 84740B3C
	v_fma_f32 v61, v61, s5, -v29                               // 0000000051D0: D1CB003D 84740B3D
	v_fma_f32 v62, v62, s5, -v29                               // 0000000051D8: D1CB003E 84740B3E
	v_fma_f32 v63, v63, s5, -v29                               // 0000000051E0: D1CB003F 84740B3F
	v_exp_f32_e32 v32, v32                                     // 0000000051E8: 7E404120
	v_exp_f32_e32 v33, v33                                     // 0000000051EC: 7E424121
	v_exp_f32_e32 v34, v34                                     // 0000000051F0: 7E444122
	v_exp_f32_e32 v35, v35                                     // 0000000051F4: 7E464123
	v_exp_f32_e32 v36, v36                                     // 0000000051F8: 7E484124
	v_exp_f32_e32 v37, v37                                     // 0000000051FC: 7E4A4125
	v_exp_f32_e32 v38, v38                                     // 000000005200: 7E4C4126
	v_exp_f32_e32 v39, v39                                     // 000000005204: 7E4E4127
	v_exp_f32_e32 v40, v40                                     // 000000005208: 7E504128
	v_exp_f32_e32 v41, v41                                     // 00000000520C: 7E524129
	v_exp_f32_e32 v42, v42                                     // 000000005210: 7E54412A
	v_exp_f32_e32 v43, v43                                     // 000000005214: 7E56412B
	v_exp_f32_e32 v44, v44                                     // 000000005218: 7E58412C
	v_exp_f32_e32 v45, v45                                     // 00000000521C: 7E5A412D
	v_exp_f32_e32 v46, v46                                     // 000000005220: 7E5C412E
	v_exp_f32_e32 v47, v47                                     // 000000005224: 7E5E412F
	v_exp_f32_e32 v48, v48                                     // 000000005228: 7E604130
	v_exp_f32_e32 v49, v49                                     // 00000000522C: 7E624131
	v_exp_f32_e32 v50, v50                                     // 000000005230: 7E644132
	v_exp_f32_e32 v51, v51                                     // 000000005234: 7E664133
	v_exp_f32_e32 v52, v52                                     // 000000005238: 7E684134
	v_exp_f32_e32 v53, v53                                     // 00000000523C: 7E6A4135
	v_exp_f32_e32 v54, v54                                     // 000000005240: 7E6C4136
	v_exp_f32_e32 v55, v55                                     // 000000005244: 7E6E4137
	v_exp_f32_e32 v56, v56                                     // 000000005248: 7E704138
	v_exp_f32_e32 v57, v57                                     // 00000000524C: 7E724139
	v_exp_f32_e32 v58, v58                                     // 000000005250: 7E74413A
	v_exp_f32_e32 v59, v59                                     // 000000005254: 7E76413B
	v_exp_f32_e32 v60, v60                                     // 000000005258: 7E78413C
	v_exp_f32_e32 v61, v61                                     // 00000000525C: 7E7A413D
	v_exp_f32_e32 v62, v62                                     // 000000005260: 7E7C413E
	v_exp_f32_e32 v63, v63                                     // 000000005264: 7E7E413F
	v_mul_f32_e32 v4, v17, v4                                  // 000000005268: 0A080911
	v_mov_b32_e32 v28, v32                                     // 00000000526C: 7E380320
	v_add_f32_e32 v28, v33, v28                                // 000000005270: 02383921
	v_add_f32_e32 v28, v34, v28                                // 000000005274: 02383922
	;; [unrolled: 1-line block ×3, first 2 shown]
	v_add_f32_e32 v28, v36, v28                                // 00000000527C: 02383924
	v_add_f32_e32 v28, v37, v28                                // 000000005280: 02383925
	v_add_f32_e32 v28, v38, v28                                // 000000005284: 02383926
	;; [unrolled: 1-line block ×3, first 2 shown]
	v_add_f32_e32 v28, v40, v28                                // 00000000528C: 02383928
	v_add_f32_e32 v28, v41, v28                                // 000000005290: 02383929
	v_add_f32_e32 v28, v42, v28                                // 000000005294: 0238392A
	v_add_f32_e32 v28, v43, v28                                // 000000005298: 0238392B
	v_add_f32_e32 v28, v44, v28                                // 00000000529C: 0238392C
	v_add_f32_e32 v28, v45, v28                                // 0000000052A0: 0238392D
	v_add_f32_e32 v28, v46, v28                                // 0000000052A4: 0238392E
	v_add_f32_e32 v28, v47, v28                                // 0000000052A8: 0238392F
	v_add_f32_e32 v28, v48, v28                                // 0000000052AC: 02383930
	v_add_f32_e32 v28, v49, v28                                // 0000000052B0: 02383931
	v_add_f32_e32 v28, v50, v28                                // 0000000052B4: 02383932
	v_add_f32_e32 v28, v51, v28                                // 0000000052B8: 02383933
	v_add_f32_e32 v28, v52, v28                                // 0000000052BC: 02383934
	v_add_f32_e32 v28, v53, v28                                // 0000000052C0: 02383935
	v_add_f32_e32 v28, v54, v28                                // 0000000052C4: 02383936
	v_add_f32_e32 v28, v55, v28                                // 0000000052C8: 02383937
	v_add_f32_e32 v28, v56, v28                                // 0000000052CC: 02383938
	v_add_f32_e32 v28, v57, v28                                // 0000000052D0: 02383939
	v_add_f32_e32 v28, v58, v28                                // 0000000052D4: 0238393A
	v_add_f32_e32 v28, v59, v28                                // 0000000052D8: 0238393B
	v_add_f32_e32 v28, v60, v28                                // 0000000052DC: 0238393C
	v_add_f32_e32 v28, v61, v28                                // 0000000052E0: 0238393D
	v_add_f32_e32 v28, v62, v28                                // 0000000052E4: 0238393E
	v_add_f32_e32 v28, v63, v28                                // 0000000052E8: 0238393F
	v_add_f32_e32 v4, v28, v4                                  // 0000000052EC: 0208091C
	v_cvt_pk_fp8_f32 v32, v32, v33                             // 0000000052F0: D2A20020 00024320
	v_cvt_pk_fp8_f32 v32, v34, v35 op_sel:[0,0,1]              // 0000000052F8: D2A24020 00024722
	v_cvt_pk_fp8_f32 v33, v36, v37                             // 000000005300: D2A20021 00024B24
	v_cvt_pk_fp8_f32 v33, v38, v39 op_sel:[0,0,1]              // 000000005308: D2A24021 00024F26
	v_cvt_pk_fp8_f32 v34, v40, v41                             // 000000005310: D2A20022 00025328
	v_cvt_pk_fp8_f32 v34, v42, v43 op_sel:[0,0,1]              // 000000005318: D2A24022 0002572A
	v_cvt_pk_fp8_f32 v35, v44, v45                             // 000000005320: D2A20023 00025B2C
	v_cvt_pk_fp8_f32 v35, v46, v47 op_sel:[0,0,1]              // 000000005328: D2A24023 00025F2E
	v_cvt_pk_fp8_f32 v36, v48, v49                             // 000000005330: D2A20024 00026330
	v_cvt_pk_fp8_f32 v36, v50, v51 op_sel:[0,0,1]              // 000000005338: D2A24024 00026732
	v_cvt_pk_fp8_f32 v37, v52, v53                             // 000000005340: D2A20025 00026B34
	v_cvt_pk_fp8_f32 v37, v54, v55 op_sel:[0,0,1]              // 000000005348: D2A24025 00026F36
	v_cvt_pk_fp8_f32 v38, v56, v57                             // 000000005350: D2A20026 00027338
	v_cvt_pk_fp8_f32 v38, v58, v59 op_sel:[0,0,1]              // 000000005358: D2A24026 0002773A
	v_cvt_pk_fp8_f32 v39, v60, v61                             // 000000005360: D2A20027 00027B3C
	v_cvt_pk_fp8_f32 v39, v62, v63 op_sel:[0,0,1]              // 000000005368: D2A24027 00027F3E
	v_permlane32_swap_b32_e32 v32, v34                         // 000000005370: 7E40B522
	v_permlane32_swap_b32_e32 v33, v35                         // 000000005374: 7E42B523
	v_swap_b32 v33, v34                                        // 000000005378: 7E42A322
	v_permlane32_swap_b32_e32 v36, v38                         // 00000000537C: 7E48B526
	v_permlane32_swap_b32_e32 v37, v39                         // 000000005380: 7E4AB527
	v_swap_b32 v37, v38                                        // 000000005384: 7E4AA326
	v_mov_b32_e32 v28, v17                                     // 000000005388: 7E380311
	v_mul_f32_e32 v64, v28, v64                                // 00000000538C: 0A80811C
	v_mul_f32_e32 v65, v28, v65                                // 000000005390: 0A82831C
	v_mul_f32_e32 v66, v28, v66                                // 000000005394: 0A84851C
	v_mul_f32_e32 v67, v28, v67                                // 000000005398: 0A86871C
	v_mul_f32_e32 v68, v28, v68                                // 00000000539C: 0A88891C
	v_mul_f32_e32 v69, v28, v69                                // 0000000053A0: 0A8A8B1C
	v_mul_f32_e32 v70, v28, v70                                // 0000000053A4: 0A8C8D1C
	v_mul_f32_e32 v71, v28, v71                                // 0000000053A8: 0A8E8F1C
	v_mul_f32_e32 v72, v28, v72                                // 0000000053AC: 0A90911C
	v_mul_f32_e32 v73, v28, v73                                // 0000000053B0: 0A92931C
	v_mul_f32_e32 v74, v28, v74                                // 0000000053B4: 0A94951C
	v_mul_f32_e32 v75, v28, v75                                // 0000000053B8: 0A96971C
	v_mul_f32_e32 v76, v28, v76                                // 0000000053BC: 0A98991C
	v_mul_f32_e32 v77, v28, v77                                // 0000000053C0: 0A9A9B1C
	v_mul_f32_e32 v78, v28, v78                                // 0000000053C4: 0A9C9D1C
	v_mul_f32_e32 v79, v28, v79                                // 0000000053C8: 0A9E9F1C
	v_mul_f32_e32 v80, v28, v80                                // 0000000053CC: 0AA0A11C
	v_mul_f32_e32 v81, v28, v81                                // 0000000053D0: 0AA2A31C
	v_mul_f32_e32 v82, v28, v82                                // 0000000053D4: 0AA4A51C
	v_mul_f32_e32 v83, v28, v83                                // 0000000053D8: 0AA6A71C
	v_mul_f32_e32 v84, v28, v84                                // 0000000053DC: 0AA8A91C
	v_mul_f32_e32 v85, v28, v85                                // 0000000053E0: 0AAAAB1C
	v_mul_f32_e32 v86, v28, v86                                // 0000000053E4: 0AACAD1C
	v_mul_f32_e32 v87, v28, v87                                // 0000000053E8: 0AAEAF1C
	v_mul_f32_e32 v88, v28, v88                                // 0000000053EC: 0AB0B11C
	v_mul_f32_e32 v89, v28, v89                                // 0000000053F0: 0AB2B31C
	v_mul_f32_e32 v90, v28, v90                                // 0000000053F4: 0AB4B51C
	v_mul_f32_e32 v91, v28, v91                                // 0000000053F8: 0AB6B71C
	v_mul_f32_e32 v92, v28, v92                                // 0000000053FC: 0AB8B91C
	v_mul_f32_e32 v93, v28, v93                                // 000000005400: 0ABABB1C
	v_mul_f32_e32 v94, v28, v94                                // 000000005404: 0ABCBD1C
	v_mul_f32_e32 v95, v28, v95                                // 000000005408: 0ABEBF1C
	v_mul_f32_e32 v96, v28, v96                                // 00000000540C: 0AC0C11C
	v_mul_f32_e32 v97, v28, v97                                // 000000005410: 0AC2C31C
	v_mul_f32_e32 v98, v28, v98                                // 000000005414: 0AC4C51C
	v_mul_f32_e32 v99, v28, v99                                // 000000005418: 0AC6C71C
	v_mul_f32_e32 v100, v28, v100                              // 00000000541C: 0AC8C91C
	v_mul_f32_e32 v101, v28, v101                              // 000000005420: 0ACACB1C
	v_mul_f32_e32 v102, v28, v102                              // 000000005424: 0ACCCD1C
	v_mul_f32_e32 v103, v28, v103                              // 000000005428: 0ACECF1C
	v_mul_f32_e32 v104, v28, v104                              // 00000000542C: 0AD0D11C
	v_mul_f32_e32 v105, v28, v105                              // 000000005430: 0AD2D31C
	v_mul_f32_e32 v106, v28, v106                              // 000000005434: 0AD4D51C
	v_mul_f32_e32 v107, v28, v107                              // 000000005438: 0AD6D71C
	v_mul_f32_e32 v108, v28, v108                              // 00000000543C: 0AD8D91C
	v_mul_f32_e32 v109, v28, v109                              // 000000005440: 0ADADB1C
	v_mul_f32_e32 v110, v28, v110                              // 000000005444: 0ADCDD1C
	v_mul_f32_e32 v111, v28, v111                              // 000000005448: 0ADEDF1C
	v_mul_f32_e32 v112, v28, v112                              // 00000000544C: 0AE0E11C
	v_mul_f32_e32 v113, v28, v113                              // 000000005450: 0AE2E31C
	v_mul_f32_e32 v114, v28, v114                              // 000000005454: 0AE4E51C
	v_mul_f32_e32 v115, v28, v115                              // 000000005458: 0AE6E71C
	v_mul_f32_e32 v116, v28, v116                              // 00000000545C: 0AE8E91C
	v_mul_f32_e32 v117, v28, v117                              // 000000005460: 0AEAEB1C
	v_mul_f32_e32 v118, v28, v118                              // 000000005464: 0AECED1C
	v_mul_f32_e32 v119, v28, v119                              // 000000005468: 0AEEEF1C
	v_mul_f32_e32 v120, v28, v120                              // 00000000546C: 0AF0F11C
	v_mul_f32_e32 v121, v28, v121                              // 000000005470: 0AF2F31C
	v_mul_f32_e32 v122, v28, v122                              // 000000005474: 0AF4F51C
	v_mul_f32_e32 v123, v28, v123                              // 000000005478: 0AF6F71C
	v_mul_f32_e32 v124, v28, v124                              // 00000000547C: 0AF8F91C
	v_mul_f32_e32 v125, v28, v125                              // 000000005480: 0AFAFB1C
	v_mul_f32_e32 v126, v28, v126                              // 000000005484: 0AFCFD1C
	v_mul_f32_e32 v127, v28, v127                              // 000000005488: 0AFEFF1C
	v_mul_f32_e32 v128, v28, v128                              // 00000000548C: 0B01011C
	v_mul_f32_e32 v129, v28, v129                              // 000000005490: 0B03031C
	v_mul_f32_e32 v130, v28, v130                              // 000000005494: 0B05051C
	v_mul_f32_e32 v131, v28, v131                              // 000000005498: 0B07071C
	v_mul_f32_e32 v132, v28, v132                              // 00000000549C: 0B09091C
	v_mul_f32_e32 v133, v28, v133                              // 0000000054A0: 0B0B0B1C
	v_mul_f32_e32 v134, v28, v134                              // 0000000054A4: 0B0D0D1C
	v_mul_f32_e32 v135, v28, v135                              // 0000000054A8: 0B0F0F1C
	v_mul_f32_e32 v136, v28, v136                              // 0000000054AC: 0B11111C
	v_mul_f32_e32 v137, v28, v137                              // 0000000054B0: 0B13131C
	v_mul_f32_e32 v138, v28, v138                              // 0000000054B4: 0B15151C
	v_mul_f32_e32 v139, v28, v139                              // 0000000054B8: 0B17171C
	v_mul_f32_e32 v140, v28, v140                              // 0000000054BC: 0B19191C
	v_mul_f32_e32 v141, v28, v141                              // 0000000054C0: 0B1B1B1C
	v_mul_f32_e32 v142, v28, v142                              // 0000000054C4: 0B1D1D1C
	v_mul_f32_e32 v143, v28, v143                              // 0000000054C8: 0B1F1F1C
	v_mul_f32_e32 v144, v28, v144                              // 0000000054CC: 0B21211C
	v_mul_f32_e32 v145, v28, v145                              // 0000000054D0: 0B23231C
	v_mul_f32_e32 v146, v28, v146                              // 0000000054D4: 0B25251C
	v_mul_f32_e32 v147, v28, v147                              // 0000000054D8: 0B27271C
	v_mul_f32_e32 v148, v28, v148                              // 0000000054DC: 0B29291C
	v_mul_f32_e32 v149, v28, v149                              // 0000000054E0: 0B2B2B1C
	v_mul_f32_e32 v150, v28, v150                              // 0000000054E4: 0B2D2D1C
	v_mul_f32_e32 v151, v28, v151                              // 0000000054E8: 0B2F2F1C
	v_mul_f32_e32 v152, v28, v152                              // 0000000054EC: 0B31311C
	v_mul_f32_e32 v153, v28, v153                              // 0000000054F0: 0B33331C
	v_mul_f32_e32 v154, v28, v154                              // 0000000054F4: 0B35351C
	v_mul_f32_e32 v155, v28, v155                              // 0000000054F8: 0B37371C
	v_mul_f32_e32 v156, v28, v156                              // 0000000054FC: 0B39391C
	v_mul_f32_e32 v157, v28, v157                              // 000000005500: 0B3B3B1C
	v_mul_f32_e32 v158, v28, v158                              // 000000005504: 0B3D3D1C
	v_mul_f32_e32 v159, v28, v159                              // 000000005508: 0B3F3F1C
	v_mul_f32_e32 v160, v28, v160                              // 00000000550C: 0B41411C
	v_mul_f32_e32 v161, v28, v161                              // 000000005510: 0B43431C
	v_mul_f32_e32 v162, v28, v162                              // 000000005514: 0B45451C
	v_mul_f32_e32 v163, v28, v163                              // 000000005518: 0B47471C
	v_mul_f32_e32 v164, v28, v164                              // 00000000551C: 0B49491C
	v_mul_f32_e32 v165, v28, v165                              // 000000005520: 0B4B4B1C
	v_mul_f32_e32 v166, v28, v166                              // 000000005524: 0B4D4D1C
	v_mul_f32_e32 v167, v28, v167                              // 000000005528: 0B4F4F1C
	v_mul_f32_e32 v168, v28, v168                              // 00000000552C: 0B51511C
	v_mul_f32_e32 v169, v28, v169                              // 000000005530: 0B53531C
	v_mul_f32_e32 v170, v28, v170                              // 000000005534: 0B55551C
	v_mul_f32_e32 v171, v28, v171                              // 000000005538: 0B57571C
	v_mul_f32_e32 v172, v28, v172                              // 00000000553C: 0B59591C
	v_mul_f32_e32 v173, v28, v173                              // 000000005540: 0B5B5B1C
	v_mul_f32_e32 v174, v28, v174                              // 000000005544: 0B5D5D1C
	v_mul_f32_e32 v175, v28, v175                              // 000000005548: 0B5F5F1C
	v_mul_f32_e32 v176, v28, v176                              // 00000000554C: 0B61611C
	v_mul_f32_e32 v177, v28, v177                              // 000000005550: 0B63631C
	v_mul_f32_e32 v178, v28, v178                              // 000000005554: 0B65651C
	v_mul_f32_e32 v179, v28, v179                              // 000000005558: 0B67671C
	v_mul_f32_e32 v180, v28, v180                              // 00000000555C: 0B69691C
	v_mul_f32_e32 v181, v28, v181                              // 000000005560: 0B6B6B1C
	v_mul_f32_e32 v182, v28, v182                              // 000000005564: 0B6D6D1C
	v_mul_f32_e32 v183, v28, v183                              // 000000005568: 0B6F6F1C
	v_mul_f32_e32 v184, v28, v184                              // 00000000556C: 0B71711C
	v_mul_f32_e32 v185, v28, v185                              // 000000005570: 0B73731C
	v_mul_f32_e32 v186, v28, v186                              // 000000005574: 0B75751C
	v_mul_f32_e32 v187, v28, v187                              // 000000005578: 0B77771C
	v_mul_f32_e32 v188, v28, v188                              // 00000000557C: 0B79791C
	v_mul_f32_e32 v189, v28, v189                              // 000000005580: 0B7B7B1C
	v_mul_f32_e32 v190, v28, v190                              // 000000005584: 0B7D7D1C
	v_mul_f32_e32 v191, v28, v191                              // 000000005588: 0B7F7F1C
	v_mul_f32_e32 v192, v28, v192                              // 00000000558C: 0B81811C
	v_mul_f32_e32 v193, v28, v193                              // 000000005590: 0B83831C
	v_mul_f32_e32 v194, v28, v194                              // 000000005594: 0B85851C
	v_mul_f32_e32 v195, v28, v195                              // 000000005598: 0B87871C
	v_mul_f32_e32 v196, v28, v196                              // 00000000559C: 0B89891C
	v_mul_f32_e32 v197, v28, v197                              // 0000000055A0: 0B8B8B1C
	v_mul_f32_e32 v198, v28, v198                              // 0000000055A4: 0B8D8D1C
	v_mul_f32_e32 v199, v28, v199                              // 0000000055A8: 0B8F8F1C
	v_mul_f32_e32 v200, v28, v200                              // 0000000055AC: 0B91911C
	v_mul_f32_e32 v201, v28, v201                              // 0000000055B0: 0B93931C
	v_mul_f32_e32 v202, v28, v202                              // 0000000055B4: 0B95951C
	v_mul_f32_e32 v203, v28, v203                              // 0000000055B8: 0B97971C
	v_mul_f32_e32 v204, v28, v204                              // 0000000055BC: 0B99991C
	v_mul_f32_e32 v205, v28, v205                              // 0000000055C0: 0B9B9B1C
	v_mul_f32_e32 v206, v28, v206                              // 0000000055C4: 0B9D9D1C
	v_mul_f32_e32 v207, v28, v207                              // 0000000055C8: 0B9F9F1C
	v_mul_f32_e32 v208, v28, v208                              // 0000000055CC: 0BA1A11C
	v_mul_f32_e32 v209, v28, v209                              // 0000000055D0: 0BA3A31C
	v_mul_f32_e32 v210, v28, v210                              // 0000000055D4: 0BA5A51C
	v_mul_f32_e32 v211, v28, v211                              // 0000000055D8: 0BA7A71C
	v_mul_f32_e32 v212, v28, v212                              // 0000000055DC: 0BA9A91C
	v_mul_f32_e32 v213, v28, v213                              // 0000000055E0: 0BABAB1C
	v_mul_f32_e32 v214, v28, v214                              // 0000000055E4: 0BADAD1C
	v_mul_f32_e32 v215, v28, v215                              // 0000000055E8: 0BAFAF1C
	v_mul_f32_e32 v216, v28, v216                              // 0000000055EC: 0BB1B11C
	v_mul_f32_e32 v217, v28, v217                              // 0000000055F0: 0BB3B31C
	v_mul_f32_e32 v218, v28, v218                              // 0000000055F4: 0BB5B51C
	v_mul_f32_e32 v219, v28, v219                              // 0000000055F8: 0BB7B71C
	v_mul_f32_e32 v220, v28, v220                              // 0000000055FC: 0BB9B91C
	v_mul_f32_e32 v221, v28, v221                              // 000000005600: 0BBBBB1C
	v_mul_f32_e32 v222, v28, v222                              // 000000005604: 0BBDBD1C
	v_mul_f32_e32 v223, v28, v223                              // 000000005608: 0BBFBF1C
	v_accvgpr_read_b32 v29, a144                               // 00000000560C: D3D8401D 18000190
	v_mul_f32_e32 v29, v28, v29                                // 000000005614: 0A3A3B1C
	v_accvgpr_write_b32 a144, v29                              // 000000005618: D3D94090 1800011D
	v_accvgpr_read_b32 v29, a145                               // 000000005620: D3D8401D 18000191
	v_mul_f32_e32 v29, v28, v29                                // 000000005628: 0A3A3B1C
	v_accvgpr_write_b32 a145, v29                              // 00000000562C: D3D94091 1800011D
	v_accvgpr_read_b32 v29, a146                               // 000000005634: D3D8401D 18000192
	v_mul_f32_e32 v29, v28, v29                                // 00000000563C: 0A3A3B1C
	v_accvgpr_write_b32 a146, v29                              // 000000005640: D3D94092 1800011D
	v_accvgpr_read_b32 v29, a147                               // 000000005648: D3D8401D 18000193
	v_mul_f32_e32 v29, v28, v29                                // 000000005650: 0A3A3B1C
	v_accvgpr_write_b32 a147, v29                              // 000000005654: D3D94093 1800011D
	v_accvgpr_read_b32 v29, a148                               // 00000000565C: D3D8401D 18000194
	v_mul_f32_e32 v29, v28, v29                                // 000000005664: 0A3A3B1C
	v_accvgpr_write_b32 a148, v29                              // 000000005668: D3D94094 1800011D
	v_accvgpr_read_b32 v29, a149                               // 000000005670: D3D8401D 18000195
	v_mul_f32_e32 v29, v28, v29                                // 000000005678: 0A3A3B1C
	v_accvgpr_write_b32 a149, v29                              // 00000000567C: D3D94095 1800011D
	v_accvgpr_read_b32 v29, a150                               // 000000005684: D3D8401D 18000196
	v_mul_f32_e32 v29, v28, v29                                // 00000000568C: 0A3A3B1C
	v_accvgpr_write_b32 a150, v29                              // 000000005690: D3D94096 1800011D
	v_accvgpr_read_b32 v29, a151                               // 000000005698: D3D8401D 18000197
	v_mul_f32_e32 v29, v28, v29                                // 0000000056A0: 0A3A3B1C
	v_accvgpr_write_b32 a151, v29                              // 0000000056A4: D3D94097 1800011D
	v_accvgpr_read_b32 v29, a152                               // 0000000056AC: D3D8401D 18000198
	v_mul_f32_e32 v29, v28, v29                                // 0000000056B4: 0A3A3B1C
	v_accvgpr_write_b32 a152, v29                              // 0000000056B8: D3D94098 1800011D
	v_accvgpr_read_b32 v29, a153                               // 0000000056C0: D3D8401D 18000199
	v_mul_f32_e32 v29, v28, v29                                // 0000000056C8: 0A3A3B1C
	v_accvgpr_write_b32 a153, v29                              // 0000000056CC: D3D94099 1800011D
	v_accvgpr_read_b32 v29, a154                               // 0000000056D4: D3D8401D 1800019A
	v_mul_f32_e32 v29, v28, v29                                // 0000000056DC: 0A3A3B1C
	v_accvgpr_write_b32 a154, v29                              // 0000000056E0: D3D9409A 1800011D
	v_accvgpr_read_b32 v29, a155                               // 0000000056E8: D3D8401D 1800019B
	v_mul_f32_e32 v29, v28, v29                                // 0000000056F0: 0A3A3B1C
	v_accvgpr_write_b32 a155, v29                              // 0000000056F4: D3D9409B 1800011D
	v_accvgpr_read_b32 v29, a156                               // 0000000056FC: D3D8401D 1800019C
	v_mul_f32_e32 v29, v28, v29                                // 000000005704: 0A3A3B1C
	v_accvgpr_write_b32 a156, v29                              // 000000005708: D3D9409C 1800011D
	v_accvgpr_read_b32 v29, a157                               // 000000005710: D3D8401D 1800019D
	v_mul_f32_e32 v29, v28, v29                                // 000000005718: 0A3A3B1C
	v_accvgpr_write_b32 a157, v29                              // 00000000571C: D3D9409D 1800011D
	v_accvgpr_read_b32 v29, a158                               // 000000005724: D3D8401D 1800019E
	v_mul_f32_e32 v29, v28, v29                                // 00000000572C: 0A3A3B1C
	v_accvgpr_write_b32 a158, v29                              // 000000005730: D3D9409E 1800011D
	v_accvgpr_read_b32 v29, a159                               // 000000005738: D3D8401D 1800019F
	v_mul_f32_e32 v29, v28, v29                                // 000000005740: 0A3A3B1C
	v_accvgpr_write_b32 a159, v29                              // 000000005744: D3D9409F 1800011D
	v_accvgpr_read_b32 v29, a160                               // 00000000574C: D3D8401D 180001A0
	v_mul_f32_e32 v29, v28, v29                                // 000000005754: 0A3A3B1C
	v_accvgpr_write_b32 a160, v29                              // 000000005758: D3D940A0 1800011D
	v_accvgpr_read_b32 v29, a161                               // 000000005760: D3D8401D 180001A1
	v_mul_f32_e32 v29, v28, v29                                // 000000005768: 0A3A3B1C
	v_accvgpr_write_b32 a161, v29                              // 00000000576C: D3D940A1 1800011D
	v_accvgpr_read_b32 v29, a162                               // 000000005774: D3D8401D 180001A2
	v_mul_f32_e32 v29, v28, v29                                // 00000000577C: 0A3A3B1C
	v_accvgpr_write_b32 a162, v29                              // 000000005780: D3D940A2 1800011D
	v_accvgpr_read_b32 v29, a163                               // 000000005788: D3D8401D 180001A3
	v_mul_f32_e32 v29, v28, v29                                // 000000005790: 0A3A3B1C
	v_accvgpr_write_b32 a163, v29                              // 000000005794: D3D940A3 1800011D
	v_accvgpr_read_b32 v29, a164                               // 00000000579C: D3D8401D 180001A4
	v_mul_f32_e32 v29, v28, v29                                // 0000000057A4: 0A3A3B1C
	v_accvgpr_write_b32 a164, v29                              // 0000000057A8: D3D940A4 1800011D
	v_accvgpr_read_b32 v29, a165                               // 0000000057B0: D3D8401D 180001A5
	v_mul_f32_e32 v29, v28, v29                                // 0000000057B8: 0A3A3B1C
	v_accvgpr_write_b32 a165, v29                              // 0000000057BC: D3D940A5 1800011D
	v_accvgpr_read_b32 v29, a166                               // 0000000057C4: D3D8401D 180001A6
	v_mul_f32_e32 v29, v28, v29                                // 0000000057CC: 0A3A3B1C
	v_accvgpr_write_b32 a166, v29                              // 0000000057D0: D3D940A6 1800011D
	v_accvgpr_read_b32 v29, a167                               // 0000000057D8: D3D8401D 180001A7
	v_mul_f32_e32 v29, v28, v29                                // 0000000057E0: 0A3A3B1C
	v_accvgpr_write_b32 a167, v29                              // 0000000057E4: D3D940A7 1800011D
	v_accvgpr_read_b32 v29, a168                               // 0000000057EC: D3D8401D 180001A8
	v_mul_f32_e32 v29, v28, v29                                // 0000000057F4: 0A3A3B1C
	v_accvgpr_write_b32 a168, v29                              // 0000000057F8: D3D940A8 1800011D
	v_accvgpr_read_b32 v29, a169                               // 000000005800: D3D8401D 180001A9
	v_mul_f32_e32 v29, v28, v29                                // 000000005808: 0A3A3B1C
	v_accvgpr_write_b32 a169, v29                              // 00000000580C: D3D940A9 1800011D
	v_accvgpr_read_b32 v29, a170                               // 000000005814: D3D8401D 180001AA
	v_mul_f32_e32 v29, v28, v29                                // 00000000581C: 0A3A3B1C
	v_accvgpr_write_b32 a170, v29                              // 000000005820: D3D940AA 1800011D
	v_accvgpr_read_b32 v29, a171                               // 000000005828: D3D8401D 180001AB
	v_mul_f32_e32 v29, v28, v29                                // 000000005830: 0A3A3B1C
	v_accvgpr_write_b32 a171, v29                              // 000000005834: D3D940AB 1800011D
	v_accvgpr_read_b32 v29, a172                               // 00000000583C: D3D8401D 180001AC
	v_mul_f32_e32 v29, v28, v29                                // 000000005844: 0A3A3B1C
	v_accvgpr_write_b32 a172, v29                              // 000000005848: D3D940AC 1800011D
	v_accvgpr_read_b32 v29, a173                               // 000000005850: D3D8401D 180001AD
	v_mul_f32_e32 v29, v28, v29                                // 000000005858: 0A3A3B1C
	v_accvgpr_write_b32 a173, v29                              // 00000000585C: D3D940AD 1800011D
	v_accvgpr_read_b32 v29, a174                               // 000000005864: D3D8401D 180001AE
	v_mul_f32_e32 v29, v28, v29                                // 00000000586C: 0A3A3B1C
	v_accvgpr_write_b32 a174, v29                              // 000000005870: D3D940AE 1800011D
	v_accvgpr_read_b32 v29, a175                               // 000000005878: D3D8401D 180001AF
	v_mul_f32_e32 v29, v28, v29                                // 000000005880: 0A3A3B1C
	v_accvgpr_write_b32 a175, v29                              // 000000005884: D3D940AF 1800011D
	v_accvgpr_read_b32 v29, a176                               // 00000000588C: D3D8401D 180001B0
	v_mul_f32_e32 v29, v28, v29                                // 000000005894: 0A3A3B1C
	v_accvgpr_write_b32 a176, v29                              // 000000005898: D3D940B0 1800011D
	v_accvgpr_read_b32 v29, a177                               // 0000000058A0: D3D8401D 180001B1
	v_mul_f32_e32 v29, v28, v29                                // 0000000058A8: 0A3A3B1C
	v_accvgpr_write_b32 a177, v29                              // 0000000058AC: D3D940B1 1800011D
	v_accvgpr_read_b32 v29, a178                               // 0000000058B4: D3D8401D 180001B2
	v_mul_f32_e32 v29, v28, v29                                // 0000000058BC: 0A3A3B1C
	v_accvgpr_write_b32 a178, v29                              // 0000000058C0: D3D940B2 1800011D
	v_accvgpr_read_b32 v29, a179                               // 0000000058C8: D3D8401D 180001B3
	v_mul_f32_e32 v29, v28, v29                                // 0000000058D0: 0A3A3B1C
	v_accvgpr_write_b32 a179, v29                              // 0000000058D4: D3D940B3 1800011D
	v_accvgpr_read_b32 v29, a180                               // 0000000058DC: D3D8401D 180001B4
	v_mul_f32_e32 v29, v28, v29                                // 0000000058E4: 0A3A3B1C
	v_accvgpr_write_b32 a180, v29                              // 0000000058E8: D3D940B4 1800011D
	v_accvgpr_read_b32 v29, a181                               // 0000000058F0: D3D8401D 180001B5
	v_mul_f32_e32 v29, v28, v29                                // 0000000058F8: 0A3A3B1C
	v_accvgpr_write_b32 a181, v29                              // 0000000058FC: D3D940B5 1800011D
	v_accvgpr_read_b32 v29, a182                               // 000000005904: D3D8401D 180001B6
	v_mul_f32_e32 v29, v28, v29                                // 00000000590C: 0A3A3B1C
	v_accvgpr_write_b32 a182, v29                              // 000000005910: D3D940B6 1800011D
	v_accvgpr_read_b32 v29, a183                               // 000000005918: D3D8401D 180001B7
	v_mul_f32_e32 v29, v28, v29                                // 000000005920: 0A3A3B1C
	v_accvgpr_write_b32 a183, v29                              // 000000005924: D3D940B7 1800011D
	v_accvgpr_read_b32 v29, a184                               // 00000000592C: D3D8401D 180001B8
	v_mul_f32_e32 v29, v28, v29                                // 000000005934: 0A3A3B1C
	v_accvgpr_write_b32 a184, v29                              // 000000005938: D3D940B8 1800011D
	v_accvgpr_read_b32 v29, a185                               // 000000005940: D3D8401D 180001B9
	v_mul_f32_e32 v29, v28, v29                                // 000000005948: 0A3A3B1C
	v_accvgpr_write_b32 a185, v29                              // 00000000594C: D3D940B9 1800011D
	v_accvgpr_read_b32 v29, a186                               // 000000005954: D3D8401D 180001BA
	v_mul_f32_e32 v29, v28, v29                                // 00000000595C: 0A3A3B1C
	v_accvgpr_write_b32 a186, v29                              // 000000005960: D3D940BA 1800011D
	v_accvgpr_read_b32 v29, a187                               // 000000005968: D3D8401D 180001BB
	v_mul_f32_e32 v29, v28, v29                                // 000000005970: 0A3A3B1C
	v_accvgpr_write_b32 a187, v29                              // 000000005974: D3D940BB 1800011D
	v_accvgpr_read_b32 v29, a188                               // 00000000597C: D3D8401D 180001BC
	v_mul_f32_e32 v29, v28, v29                                // 000000005984: 0A3A3B1C
	v_accvgpr_write_b32 a188, v29                              // 000000005988: D3D940BC 1800011D
	v_accvgpr_read_b32 v29, a189                               // 000000005990: D3D8401D 180001BD
	v_mul_f32_e32 v29, v28, v29                                // 000000005998: 0A3A3B1C
	v_accvgpr_write_b32 a189, v29                              // 00000000599C: D3D940BD 1800011D
	v_accvgpr_read_b32 v29, a190                               // 0000000059A4: D3D8401D 180001BE
	v_mul_f32_e32 v29, v28, v29                                // 0000000059AC: 0A3A3B1C
	v_accvgpr_write_b32 a190, v29                              // 0000000059B0: D3D940BE 1800011D
	v_accvgpr_read_b32 v29, a191                               // 0000000059B8: D3D8401D 180001BF
	v_mul_f32_e32 v29, v28, v29                                // 0000000059C0: 0A3A3B1C
	v_accvgpr_write_b32 a191, v29                              // 0000000059C4: D3D940BF 1800011D
	v_accvgpr_read_b32 v29, a192                               // 0000000059CC: D3D8401D 180001C0
	v_mul_f32_e32 v29, v28, v29                                // 0000000059D4: 0A3A3B1C
	v_accvgpr_write_b32 a192, v29                              // 0000000059D8: D3D940C0 1800011D
	v_accvgpr_read_b32 v29, a193                               // 0000000059E0: D3D8401D 180001C1
	v_mul_f32_e32 v29, v28, v29                                // 0000000059E8: 0A3A3B1C
	v_accvgpr_write_b32 a193, v29                              // 0000000059EC: D3D940C1 1800011D
	v_accvgpr_read_b32 v29, a194                               // 0000000059F4: D3D8401D 180001C2
	v_mul_f32_e32 v29, v28, v29                                // 0000000059FC: 0A3A3B1C
	v_accvgpr_write_b32 a194, v29                              // 000000005A00: D3D940C2 1800011D
	v_accvgpr_read_b32 v29, a195                               // 000000005A08: D3D8401D 180001C3
	v_mul_f32_e32 v29, v28, v29                                // 000000005A10: 0A3A3B1C
	v_accvgpr_write_b32 a195, v29                              // 000000005A14: D3D940C3 1800011D
	v_accvgpr_read_b32 v29, a196                               // 000000005A1C: D3D8401D 180001C4
	v_mul_f32_e32 v29, v28, v29                                // 000000005A24: 0A3A3B1C
	v_accvgpr_write_b32 a196, v29                              // 000000005A28: D3D940C4 1800011D
	v_accvgpr_read_b32 v29, a197                               // 000000005A30: D3D8401D 180001C5
	v_mul_f32_e32 v29, v28, v29                                // 000000005A38: 0A3A3B1C
	v_accvgpr_write_b32 a197, v29                              // 000000005A3C: D3D940C5 1800011D
	v_accvgpr_read_b32 v29, a198                               // 000000005A44: D3D8401D 180001C6
	v_mul_f32_e32 v29, v28, v29                                // 000000005A4C: 0A3A3B1C
	v_accvgpr_write_b32 a198, v29                              // 000000005A50: D3D940C6 1800011D
	v_accvgpr_read_b32 v29, a199                               // 000000005A58: D3D8401D 180001C7
	v_mul_f32_e32 v29, v28, v29                                // 000000005A60: 0A3A3B1C
	v_accvgpr_write_b32 a199, v29                              // 000000005A64: D3D940C7 1800011D
	v_accvgpr_read_b32 v29, a200                               // 000000005A6C: D3D8401D 180001C8
	v_mul_f32_e32 v29, v28, v29                                // 000000005A74: 0A3A3B1C
	v_accvgpr_write_b32 a200, v29                              // 000000005A78: D3D940C8 1800011D
	v_accvgpr_read_b32 v29, a201                               // 000000005A80: D3D8401D 180001C9
	v_mul_f32_e32 v29, v28, v29                                // 000000005A88: 0A3A3B1C
	v_accvgpr_write_b32 a201, v29                              // 000000005A8C: D3D940C9 1800011D
	v_accvgpr_read_b32 v29, a202                               // 000000005A94: D3D8401D 180001CA
	v_mul_f32_e32 v29, v28, v29                                // 000000005A9C: 0A3A3B1C
	v_accvgpr_write_b32 a202, v29                              // 000000005AA0: D3D940CA 1800011D
	v_accvgpr_read_b32 v29, a203                               // 000000005AA8: D3D8401D 180001CB
	v_mul_f32_e32 v29, v28, v29                                // 000000005AB0: 0A3A3B1C
	v_accvgpr_write_b32 a203, v29                              // 000000005AB4: D3D940CB 1800011D
	v_accvgpr_read_b32 v29, a204                               // 000000005ABC: D3D8401D 180001CC
	v_mul_f32_e32 v29, v28, v29                                // 000000005AC4: 0A3A3B1C
	v_accvgpr_write_b32 a204, v29                              // 000000005AC8: D3D940CC 1800011D
	v_accvgpr_read_b32 v29, a205                               // 000000005AD0: D3D8401D 180001CD
	v_mul_f32_e32 v29, v28, v29                                // 000000005AD8: 0A3A3B1C
	v_accvgpr_write_b32 a205, v29                              // 000000005ADC: D3D940CD 1800011D
	v_accvgpr_read_b32 v29, a206                               // 000000005AE4: D3D8401D 180001CE
	v_mul_f32_e32 v29, v28, v29                                // 000000005AEC: 0A3A3B1C
	v_accvgpr_write_b32 a206, v29                              // 000000005AF0: D3D940CE 1800011D
	v_accvgpr_read_b32 v29, a207                               // 000000005AF8: D3D8401D 180001CF
	v_mul_f32_e32 v29, v28, v29                                // 000000005B00: 0A3A3B1C
	v_accvgpr_write_b32 a207, v29                              // 000000005B04: D3D940CF 1800011D
	v_accvgpr_read_b32 v29, a208                               // 000000005B0C: D3D8401D 180001D0
	v_mul_f32_e32 v29, v28, v29                                // 000000005B14: 0A3A3B1C
	v_accvgpr_write_b32 a208, v29                              // 000000005B18: D3D940D0 1800011D
	v_accvgpr_read_b32 v29, a209                               // 000000005B20: D3D8401D 180001D1
	v_mul_f32_e32 v29, v28, v29                                // 000000005B28: 0A3A3B1C
	v_accvgpr_write_b32 a209, v29                              // 000000005B2C: D3D940D1 1800011D
	v_accvgpr_read_b32 v29, a210                               // 000000005B34: D3D8401D 180001D2
	v_mul_f32_e32 v29, v28, v29                                // 000000005B3C: 0A3A3B1C
	v_accvgpr_write_b32 a210, v29                              // 000000005B40: D3D940D2 1800011D
	v_accvgpr_read_b32 v29, a211                               // 000000005B48: D3D8401D 180001D3
	v_mul_f32_e32 v29, v28, v29                                // 000000005B50: 0A3A3B1C
	v_accvgpr_write_b32 a211, v29                              // 000000005B54: D3D940D3 1800011D
	v_accvgpr_read_b32 v29, a212                               // 000000005B5C: D3D8401D 180001D4
	v_mul_f32_e32 v29, v28, v29                                // 000000005B64: 0A3A3B1C
	v_accvgpr_write_b32 a212, v29                              // 000000005B68: D3D940D4 1800011D
	v_accvgpr_read_b32 v29, a213                               // 000000005B70: D3D8401D 180001D5
	v_mul_f32_e32 v29, v28, v29                                // 000000005B78: 0A3A3B1C
	v_accvgpr_write_b32 a213, v29                              // 000000005B7C: D3D940D5 1800011D
	v_accvgpr_read_b32 v29, a214                               // 000000005B84: D3D8401D 180001D6
	v_mul_f32_e32 v29, v28, v29                                // 000000005B8C: 0A3A3B1C
	v_accvgpr_write_b32 a214, v29                              // 000000005B90: D3D940D6 1800011D
	v_accvgpr_read_b32 v29, a215                               // 000000005B98: D3D8401D 180001D7
	v_mul_f32_e32 v29, v28, v29                                // 000000005BA0: 0A3A3B1C
	v_accvgpr_write_b32 a215, v29                              // 000000005BA4: D3D940D7 1800011D
	v_accvgpr_read_b32 v29, a216                               // 000000005BAC: D3D8401D 180001D8
	v_mul_f32_e32 v29, v28, v29                                // 000000005BB4: 0A3A3B1C
	v_accvgpr_write_b32 a216, v29                              // 000000005BB8: D3D940D8 1800011D
	v_accvgpr_read_b32 v29, a217                               // 000000005BC0: D3D8401D 180001D9
	v_mul_f32_e32 v29, v28, v29                                // 000000005BC8: 0A3A3B1C
	v_accvgpr_write_b32 a217, v29                              // 000000005BCC: D3D940D9 1800011D
	v_accvgpr_read_b32 v29, a218                               // 000000005BD4: D3D8401D 180001DA
	v_mul_f32_e32 v29, v28, v29                                // 000000005BDC: 0A3A3B1C
	v_accvgpr_write_b32 a218, v29                              // 000000005BE0: D3D940DA 1800011D
	v_accvgpr_read_b32 v29, a219                               // 000000005BE8: D3D8401D 180001DB
	v_mul_f32_e32 v29, v28, v29                                // 000000005BF0: 0A3A3B1C
	v_accvgpr_write_b32 a219, v29                              // 000000005BF4: D3D940DB 1800011D
	v_accvgpr_read_b32 v29, a220                               // 000000005BFC: D3D8401D 180001DC
	v_mul_f32_e32 v29, v28, v29                                // 000000005C04: 0A3A3B1C
	v_accvgpr_write_b32 a220, v29                              // 000000005C08: D3D940DC 1800011D
	v_accvgpr_read_b32 v29, a221                               // 000000005C10: D3D8401D 180001DD
	v_mul_f32_e32 v29, v28, v29                                // 000000005C18: 0A3A3B1C
	v_accvgpr_write_b32 a221, v29                              // 000000005C1C: D3D940DD 1800011D
	v_accvgpr_read_b32 v29, a222                               // 000000005C24: D3D8401D 180001DE
	v_mul_f32_e32 v29, v28, v29                                // 000000005C2C: 0A3A3B1C
	v_accvgpr_write_b32 a222, v29                              // 000000005C30: D3D940DE 1800011D
	v_accvgpr_read_b32 v29, a223                               // 000000005C38: D3D8401D 180001DF
	v_mul_f32_e32 v29, v28, v29                                // 000000005C40: 0A3A3B1C
	v_accvgpr_write_b32 a223, v29                              // 000000005C44: D3D940DF 1800011D
	v_accvgpr_read_b32 v29, a224                               // 000000005C4C: D3D8401D 180001E0
	v_mul_f32_e32 v29, v28, v29                                // 000000005C54: 0A3A3B1C
	v_accvgpr_write_b32 a224, v29                              // 000000005C58: D3D940E0 1800011D
	v_accvgpr_read_b32 v29, a225                               // 000000005C60: D3D8401D 180001E1
	v_mul_f32_e32 v29, v28, v29                                // 000000005C68: 0A3A3B1C
	v_accvgpr_write_b32 a225, v29                              // 000000005C6C: D3D940E1 1800011D
	v_accvgpr_read_b32 v29, a226                               // 000000005C74: D3D8401D 180001E2
	v_mul_f32_e32 v29, v28, v29                                // 000000005C7C: 0A3A3B1C
	v_accvgpr_write_b32 a226, v29                              // 000000005C80: D3D940E2 1800011D
	v_accvgpr_read_b32 v29, a227                               // 000000005C88: D3D8401D 180001E3
	v_mul_f32_e32 v29, v28, v29                                // 000000005C90: 0A3A3B1C
	v_accvgpr_write_b32 a227, v29                              // 000000005C94: D3D940E3 1800011D
	v_accvgpr_read_b32 v29, a228                               // 000000005C9C: D3D8401D 180001E4
	v_mul_f32_e32 v29, v28, v29                                // 000000005CA4: 0A3A3B1C
	v_accvgpr_write_b32 a228, v29                              // 000000005CA8: D3D940E4 1800011D
	v_accvgpr_read_b32 v29, a229                               // 000000005CB0: D3D8401D 180001E5
	v_mul_f32_e32 v29, v28, v29                                // 000000005CB8: 0A3A3B1C
	v_accvgpr_write_b32 a229, v29                              // 000000005CBC: D3D940E5 1800011D
	v_accvgpr_read_b32 v29, a230                               // 000000005CC4: D3D8401D 180001E6
	v_mul_f32_e32 v29, v28, v29                                // 000000005CCC: 0A3A3B1C
	v_accvgpr_write_b32 a230, v29                              // 000000005CD0: D3D940E6 1800011D
	v_accvgpr_read_b32 v29, a231                               // 000000005CD8: D3D8401D 180001E7
	v_mul_f32_e32 v29, v28, v29                                // 000000005CE0: 0A3A3B1C
	v_accvgpr_write_b32 a231, v29                              // 000000005CE4: D3D940E7 1800011D
	v_accvgpr_read_b32 v29, a232                               // 000000005CEC: D3D8401D 180001E8
	v_mul_f32_e32 v29, v28, v29                                // 000000005CF4: 0A3A3B1C
	v_accvgpr_write_b32 a232, v29                              // 000000005CF8: D3D940E8 1800011D
	v_accvgpr_read_b32 v29, a233                               // 000000005D00: D3D8401D 180001E9
	v_mul_f32_e32 v29, v28, v29                                // 000000005D08: 0A3A3B1C
	v_accvgpr_write_b32 a233, v29                              // 000000005D0C: D3D940E9 1800011D
	v_accvgpr_read_b32 v29, a234                               // 000000005D14: D3D8401D 180001EA
	v_mul_f32_e32 v29, v28, v29                                // 000000005D1C: 0A3A3B1C
	v_accvgpr_write_b32 a234, v29                              // 000000005D20: D3D940EA 1800011D
	v_accvgpr_read_b32 v29, a235                               // 000000005D28: D3D8401D 180001EB
	v_mul_f32_e32 v29, v28, v29                                // 000000005D30: 0A3A3B1C
	v_accvgpr_write_b32 a235, v29                              // 000000005D34: D3D940EB 1800011D
	v_accvgpr_read_b32 v29, a236                               // 000000005D3C: D3D8401D 180001EC
	v_mul_f32_e32 v29, v28, v29                                // 000000005D44: 0A3A3B1C
	v_accvgpr_write_b32 a236, v29                              // 000000005D48: D3D940EC 1800011D
	v_accvgpr_read_b32 v29, a237                               // 000000005D50: D3D8401D 180001ED
	v_mul_f32_e32 v29, v28, v29                                // 000000005D58: 0A3A3B1C
	v_accvgpr_write_b32 a237, v29                              // 000000005D5C: D3D940ED 1800011D
	v_accvgpr_read_b32 v29, a238                               // 000000005D64: D3D8401D 180001EE
	v_mul_f32_e32 v29, v28, v29                                // 000000005D6C: 0A3A3B1C
	v_accvgpr_write_b32 a238, v29                              // 000000005D70: D3D940EE 1800011D
	v_accvgpr_read_b32 v29, a239                               // 000000005D78: D3D8401D 180001EF
	v_mul_f32_e32 v29, v28, v29                                // 000000005D80: 0A3A3B1C
	v_accvgpr_write_b32 a239, v29                              // 000000005D84: D3D940EF 1800011D
	s_waitcnt lgkmcnt(0)                                       // 000000005D8C: BF8CC07F
	v_mfma_f32_32x32x64_f8f6f4 v[64:79], a[72:79], v[32:39], v[64:79]// 000000005D90: D3AE0040 0D024148
	ds_read_b64_tr_b8 a[72:73], v13 offset:4096                // 000000005D98: DBC41000 4800000D
	ds_read_b64_tr_b8 a[74:75], v14 offset:4096                // 000000005DA0: DBC41000 4A00000E
	ds_read_b64_tr_b8 a[76:77], v13 offset:22528               // 000000005DA8: DBC45800 4C00000D
	ds_read_b64_tr_b8 a[78:79], v14 offset:22528               // 000000005DB0: DBC45800 4E00000E
	v_mfma_f32_32x32x64_f8f6f4 v[80:95], a[80:87], v[32:39], v[80:95]// 000000005DB8: D3AE0050 0D424150
	ds_read_b64_tr_b8 a[80:81], v15 offset:4096                // 000000005DC0: DBC41000 5000000F
	ds_read_b64_tr_b8 a[82:83], v16 offset:4096                // 000000005DC8: DBC41000 52000010
	ds_read_b64_tr_b8 a[84:85], v15 offset:22528               // 000000005DD0: DBC45800 5400000F
	ds_read_b64_tr_b8 a[86:87], v16 offset:22528               // 000000005DD8: DBC45800 56000010
	v_mfma_f32_32x32x64_f8f6f4 v[96:111], a[88:95], v[32:39], v[96:111]// 000000005DE0: D3AE0060 0D824158
	ds_read_b64_tr_b8 a[88:89], v13 offset:5120                // 000000005DE8: DBC41400 5800000D
	ds_read_b64_tr_b8 a[90:91], v14 offset:5120                // 000000005DF0: DBC41400 5A00000E
	ds_read_b64_tr_b8 a[92:93], v13 offset:23552               // 000000005DF8: DBC45C00 5C00000D
	ds_read_b64_tr_b8 a[94:95], v14 offset:23552               // 000000005E00: DBC45C00 5E00000E
	v_mfma_f32_32x32x64_f8f6f4 v[112:127], a[96:103], v[32:39], v[112:127]// 000000005E08: D3AE0070 0DC24160
	ds_read_b64_tr_b8 a[96:97], v15 offset:5120                // 000000005E10: DBC41400 6000000F
	ds_read_b64_tr_b8 a[98:99], v16 offset:5120                // 000000005E18: DBC41400 62000010
	ds_read_b64_tr_b8 a[100:101], v15 offset:23552             // 000000005E20: DBC45C00 6400000F
	ds_read_b64_tr_b8 a[102:103], v16 offset:23552             // 000000005E28: DBC45C00 66000010
	v_mfma_f32_32x32x64_f8f6f4 v[128:143], a[104:111], v[32:39], v[128:143]// 000000005E30: D3AE0080 0E024168
	ds_read_b64_tr_b8 a[104:105], v13 offset:6144              // 000000005E38: DBC41800 6800000D
	ds_read_b64_tr_b8 a[106:107], v14 offset:6144              // 000000005E40: DBC41800 6A00000E
	ds_read_b64_tr_b8 a[108:109], v13 offset:24576             // 000000005E48: DBC46000 6C00000D
	ds_read_b64_tr_b8 a[110:111], v14 offset:24576             // 000000005E50: DBC46000 6E00000E
	v_mfma_f32_32x32x64_f8f6f4 v[144:159], a[112:119], v[32:39], v[144:159]// 000000005E58: D3AE0090 0E424170
	ds_read_b64_tr_b8 a[112:113], v15 offset:6144              // 000000005E60: DBC41800 7000000F
	ds_read_b64_tr_b8 a[114:115], v16 offset:6144              // 000000005E68: DBC41800 72000010
	ds_read_b64_tr_b8 a[116:117], v15 offset:24576             // 000000005E70: DBC46000 7400000F
	ds_read_b64_tr_b8 a[118:119], v16 offset:24576             // 000000005E78: DBC46000 76000010
	v_mfma_f32_32x32x64_f8f6f4 v[160:175], a[120:127], v[32:39], v[160:175]// 000000005E80: D3AE00A0 0E824178
	ds_read_b64_tr_b8 a[120:121], v13 offset:7168              // 000000005E88: DBC41C00 7800000D
	ds_read_b64_tr_b8 a[122:123], v14 offset:7168              // 000000005E90: DBC41C00 7A00000E
	ds_read_b64_tr_b8 a[124:125], v13 offset:25600             // 000000005E98: DBC46400 7C00000D
	ds_read_b64_tr_b8 a[126:127], v14 offset:25600             // 000000005EA0: DBC46400 7E00000E
	v_mfma_f32_32x32x64_f8f6f4 v[176:191], a[128:135], v[32:39], v[176:191]// 000000005EA8: D3AE00B0 0EC24180
	ds_read_b64_tr_b8 a[128:129], v15 offset:7168              // 000000005EB0: DBC41C00 8000000F
	ds_read_b64_tr_b8 a[130:131], v16 offset:7168              // 000000005EB8: DBC41C00 82000010
	ds_read_b64_tr_b8 a[132:133], v15 offset:25600             // 000000005EC0: DBC46400 8400000F
	ds_read_b64_tr_b8 a[134:135], v16 offset:25600             // 000000005EC8: DBC46400 86000010
	s_waitcnt lgkmcnt(0)                                       // 000000005ED0: BF8CC07F
	v_mfma_f32_32x32x64_f8f6f4 v[192:207], a[72:79], v[32:39], v[192:207]// 000000005ED4: D3AE00C0 0F024148
	v_mfma_f32_32x32x64_f8f6f4 v[208:223], a[80:87], v[32:39], v[208:223]// 000000005EDC: D3AE00D0 0F424150
	s_waitcnt vmcnt(10)                                        // 000000005EE4: BF8C0F7A
	s_barrier                                                  // 000000005EE8: BF8A0000
	ds_read_b128 a[72:75], v18                                 // 000000005EEC: DBFE0000 48000012
	ds_read_b128 a[76:79], v19                                 // 000000005EF4: DBFE0000 4C000013
	v_mfma_f32_32x32x64_f8f6f4 a[144:159], a[88:95], v[32:39], a[144:159]// 000000005EFC: D3AE8090 0E424158
	ds_read_b128 a[80:83], v18 offset:1024                     // 000000005F04: DBFE0400 50000012
	ds_read_b128 a[84:87], v19 offset:1024                     // 000000005F0C: DBFE0400 54000013
	v_mfma_f32_32x32x64_f8f6f4 a[160:175], a[96:103], v[32:39], a[160:175]// 000000005F14: D3AE80A0 0E824160
	ds_read_b128 a[88:91], v18 offset:2048                     // 000000005F1C: DBFE0800 58000012
	ds_read_b128 a[92:95], v19 offset:2048                     // 000000005F24: DBFE0800 5C000013
	v_mfma_f32_32x32x64_f8f6f4 a[176:191], a[104:111], v[32:39], a[176:191]// 000000005F2C: D3AE80B0 0EC24168
	ds_read_b128 a[96:99], v18 offset:3072                     // 000000005F34: DBFE0C00 60000012
	ds_read_b128 a[100:103], v19 offset:3072                   // 000000005F3C: DBFE0C00 64000013
	v_mfma_f32_32x32x64_f8f6f4 a[192:207], a[112:119], v[32:39], a[192:207]// 000000005F44: D3AE80C0 0F024170
	ds_read_b128 a[104:107], v18 offset:4096                   // 000000005F4C: DBFE1000 68000012
	ds_read_b128 a[108:111], v19 offset:4096                   // 000000005F54: DBFE1000 6C000013
	v_mfma_f32_32x32x64_f8f6f4 a[208:223], a[120:127], v[32:39], a[208:223]// 000000005F5C: D3AE80D0 0F424178
	ds_read_b128 a[112:115], v18 offset:5120                   // 000000005F64: DBFE1400 70000012
	ds_read_b128 a[116:119], v19 offset:5120                   // 000000005F6C: DBFE1400 74000013
	v_mfma_f32_32x32x64_f8f6f4 a[224:239], a[128:135], v[32:39], a[224:239]// 000000005F74: D3AE80E0 0F824180
	ds_read_b128 a[120:123], v18 offset:6144                   // 000000005F7C: DBFE1800 78000012
	ds_read_b128 a[124:127], v19 offset:6144                   // 000000005F84: DBFE1800 7C000013
	ds_read_b128 a[128:131], v18 offset:7168                   // 000000005F8C: DBFE1C00 80000012
	ds_read_b128 a[132:135], v19 offset:7168                   // 000000005F94: DBFE1C00 84000013
	ds_read_b128 a[136:139], v18 offset:8192                   // 000000005F9C: DBFE2000 88000012
	ds_read_b128 a[140:143], v19 offset:8192                   // 000000005FA4: DBFE2000 8C000013
	s_addk_i32 s70, 0x1                                        // 000000005FAC: B7460001
	s_cmp_lt_i32 s70, s71                                      // 000000005FB0: BF044746
	s_cbranch_scc0 label_529C                                  // 000000005FB4: BF840579
	s_waitcnt lgkmcnt(4)                                       // 000000005FB8: BF8CC47F
	v_mfma_f32_32x32x64_f8f6f4 v[32:47], a[72:79], a[0:7], 0   // 000000005FBC: D3AE0020 1A020148
	v_mul_u32_u24_e64 v31, v25, s68                            // 000000005FC4: D108001F 00008919
	v_add_u32_e32 v31, v31, v1                                 // 000000005FCC: 683E031F
	buffer_load_dword v24, v27, s[24:27], 0 offen              // 000000005FD0: E0501000 8006181B
	v_mfma_f32_32x32x64_f8f6f4 v[32:47], a[80:87], a[8:15], v[32:47]// 000000005FD8: D3AE0020 1C821150
	s_mov_b32 s56, 0x1d000                                     // 000000005FE0: BEB800FF 0001D000
	s_mul_i32 s57, s7, 0x2400                                  // 000000005FE8: 9239FF07 00002400
	s_add_u32 m0, s56, s57                                     // 000000005FF0: 807C3938
	buffer_load_dwordx4 v31, s[20:23], 0 offen lds             // 000000005FF4: E05D1000 8005001F
	s_add_i32 m0, m0, 0x3c0                                    // 000000005FFC: 817CFF7C 000003C0
	v_mfma_f32_32x32x64_f8f6f4 v[32:47], a[88:95], a[16:23], v[32:47]// 000000006004: D3AE0020 1C822158
	ds_read_b128 a[72:75], v18 offset:18432                    // 00000000600C: DBFE4800 48000012
	ds_read_b128 a[76:79], v19 offset:18432                    // 000000006014: DBFE4800 4C000013
	v_mfma_f32_32x32x64_f8f6f4 v[32:47], a[96:103], a[24:31], v[32:47]// 00000000601C: D3AE0020 1C823160
	buffer_load_dwordx4 v31, s[20:23], 0 offen offset:64 lds   // 000000006024: E05D1040 8005001F
	s_add_i32 m0, m0, 0x3c0                                    // 00000000602C: 817CFF7C 000003C0
	ds_read_b128 a[80:83], v18 offset:19456                    // 000000006034: DBFE4C00 50000012
	ds_read_b128 a[84:87], v19 offset:19456                    // 00000000603C: DBFE4C00 54000013
	v_mfma_f32_32x32x64_f8f6f4 v[32:47], a[104:111], a[32:39], v[32:47]// 000000006044: D3AE0020 1C824168
	ds_read_b128 a[88:91], v18 offset:20480                    // 00000000604C: DBFE5000 58000012
	ds_read_b128 a[92:95], v19 offset:20480                    // 000000006054: DBFE5000 5C000013
	v_mfma_f32_32x32x64_f8f6f4 v[32:47], a[112:119], a[40:47], v[32:47]// 00000000605C: D3AE0020 1C825170
	buffer_load_dwordx4 v31, s[20:23], 0 offen offset:128 lds  // 000000006064: E05D1080 8005001F
	s_add_i32 m0, m0, 0x3c0                                    // 00000000606C: 817CFF7C 000003C0
	ds_read_b128 a[96:99], v18 offset:21504                    // 000000006074: DBFE5400 60000012
	ds_read_b128 a[100:103], v19 offset:21504                  // 00000000607C: DBFE5400 64000013
	v_mfma_f32_32x32x64_f8f6f4 v[32:47], a[120:127], a[48:55], v[32:47]// 000000006084: D3AE0020 1C826178
	ds_read_b128 a[104:107], v18 offset:22528                  // 00000000608C: DBFE5800 68000012
	ds_read_b128 a[108:111], v19 offset:22528                  // 000000006094: DBFE5800 6C000013
	v_mfma_f32_32x32x64_f8f6f4 v[32:47], a[128:135], a[56:63], v[32:47]// 00000000609C: D3AE0020 1C827180
	buffer_load_dwordx4 v31, s[20:23], 0 offen offset:192 lds  // 0000000060A4: E05D10C0 8005001F
	s_add_i32 m0, m0, 0x3c0                                    // 0000000060AC: 817CFF7C 000003C0
	ds_read_b128 a[112:115], v18 offset:23552                  // 0000000060B4: DBFE5C00 70000012
	ds_read_b128 a[116:119], v19 offset:23552                  // 0000000060BC: DBFE5C00 74000013
	v_mfma_f32_32x32x64_f8f6f4 v[32:47], a[136:143], a[64:71], v[32:47]// 0000000060C4: D3AE0020 1C828188
	ds_read_b128 a[120:123], v18 offset:24576                  // 0000000060CC: DBFE6000 78000012
	ds_read_b128 a[124:127], v19 offset:24576                  // 0000000060D4: DBFE6000 7C000013
	buffer_load_dwordx4 v31, s[20:23], 0 offen offset:256 lds  // 0000000060DC: E05D1100 8005001F
	s_add_i32 m0, m0, 0x3c0                                    // 0000000060E4: 817CFF7C 000003C0
	buffer_load_dwordx4 v31, s[20:23], 0 offen offset:320 lds  // 0000000060EC: E05D1140 8005001F
	s_add_i32 m0, m0, 0x3c0                                    // 0000000060F4: 817CFF7C 000003C0
	buffer_load_dwordx4 v31, s[20:23], 0 offen offset:384 lds  // 0000000060FC: E05D1180 8005001F
	s_add_i32 m0, m0, 0x3c0                                    // 000000006104: 817CFF7C 000003C0
	buffer_load_dwordx4 v31, s[20:23], 0 offen offset:448 lds  // 00000000610C: E05D11C0 8005001F
	s_add_i32 m0, m0, 0x3c0                                    // 000000006114: 817CFF7C 000003C0
	buffer_load_dwordx4 v31, s[20:23], 0 offen offset:512 lds  // 00000000611C: E05D1200 8005001F
	s_add_i32 m0, m0, 0x3c0                                    // 000000006124: 817CFF7C 000003C0
	ds_read_b128 a[128:131], v18 offset:25600                  // 00000000612C: DBFE6400 80000012
	ds_read_b128 a[132:135], v19 offset:25600                  // 000000006134: DBFE6400 84000013
	ds_read_b128 a[136:139], v18 offset:26624                  // 00000000613C: DBFE6800 88000012
	ds_read_b128 a[140:143], v19 offset:26624                  // 000000006144: DBFE6800 8C000013
	v_add_u32_e32 v27, s73, v27                                // 00000000614C: 68363649
	s_waitcnt lgkmcnt(4)                                       // 000000006150: BF8CC47F
	v_mfma_f32_32x32x64_f8f6f4 v[48:63], a[72:79], a[0:7], 0   // 000000006154: D3AE0030 1A020148
	v_mfma_f32_32x32x64_f8f6f4 v[48:63], a[80:87], a[8:15], v[48:63]// 00000000615C: D3AE0030 1CC21150
	v_mfma_f32_32x32x64_f8f6f4 v[48:63], a[88:95], a[16:23], v[48:63]// 000000006164: D3AE0030 1CC22158
	ds_read_b64_tr_b8 a[72:73], v5                             // 00000000616C: DBC40000 48000005
	ds_read_b64_tr_b8 a[74:75], v6                             // 000000006174: DBC40000 4A000006
	ds_read_b64_tr_b8 a[76:77], v5 offset:18432                // 00000000617C: DBC44800 4C000005
	ds_read_b64_tr_b8 a[78:79], v6 offset:18432                // 000000006184: DBC44800 4E000006
	v_mfma_f32_32x32x64_f8f6f4 v[48:63], a[96:103], a[24:31], v[48:63]// 00000000618C: D3AE0030 1CC23160
	ds_read_b64_tr_b8 a[80:81], v7                             // 000000006194: DBC40000 50000007
	ds_read_b64_tr_b8 a[82:83], v8                             // 00000000619C: DBC40000 52000008
	ds_read_b64_tr_b8 a[84:85], v7 offset:18432                // 0000000061A4: DBC44800 54000007
	ds_read_b64_tr_b8 a[86:87], v8 offset:18432                // 0000000061AC: DBC44800 56000008
	v_mfma_f32_32x32x64_f8f6f4 v[48:63], a[104:111], a[32:39], v[48:63]// 0000000061B4: D3AE0030 1CC24168
	ds_read_b64_tr_b8 a[88:89], v5 offset:1024                 // 0000000061BC: DBC40400 58000005
	ds_read_b64_tr_b8 a[90:91], v6 offset:1024                 // 0000000061C4: DBC40400 5A000006
	ds_read_b64_tr_b8 a[92:93], v5 offset:19456                // 0000000061CC: DBC44C00 5C000005
	ds_read_b64_tr_b8 a[94:95], v6 offset:19456                // 0000000061D4: DBC44C00 5E000006
	v_mfma_f32_32x32x64_f8f6f4 v[48:63], a[112:119], a[40:47], v[48:63]// 0000000061DC: D3AE0030 1CC25170
	ds_read_b64_tr_b8 a[96:97], v7 offset:1024                 // 0000000061E4: DBC40400 60000007
	ds_read_b64_tr_b8 a[98:99], v8 offset:1024                 // 0000000061EC: DBC40400 62000008
	ds_read_b64_tr_b8 a[100:101], v7 offset:19456              // 0000000061F4: DBC44C00 64000007
	ds_read_b64_tr_b8 a[102:103], v8 offset:19456              // 0000000061FC: DBC44C00 66000008
	v_mfma_f32_32x32x64_f8f6f4 v[48:63], a[120:127], a[48:55], v[48:63]// 000000006204: D3AE0030 1CC26178
	ds_read_b64_tr_b8 a[104:105], v5 offset:2048               // 00000000620C: DBC40800 68000005
	ds_read_b64_tr_b8 a[106:107], v6 offset:2048               // 000000006214: DBC40800 6A000006
	ds_read_b64_tr_b8 a[108:109], v5 offset:20480              // 00000000621C: DBC45000 6C000005
	ds_read_b64_tr_b8 a[110:111], v6 offset:20480              // 000000006224: DBC45000 6E000006
	v_mfma_f32_32x32x64_f8f6f4 v[48:63], a[128:135], a[56:63], v[48:63]// 00000000622C: D3AE0030 1CC27180
	ds_read_b64_tr_b8 a[112:113], v7 offset:2048               // 000000006234: DBC40800 70000007
	ds_read_b64_tr_b8 a[114:115], v8 offset:2048               // 00000000623C: DBC40800 72000008
	ds_read_b64_tr_b8 a[116:117], v7 offset:20480              // 000000006244: DBC45000 74000007
	ds_read_b64_tr_b8 a[118:119], v8 offset:20480              // 00000000624C: DBC45000 76000008
	v_mfma_f32_32x32x64_f8f6f4 v[48:63], a[136:143], a[64:71], v[48:63]// 000000006254: D3AE0030 1CC28188
	ds_read_b64_tr_b8 a[120:121], v5 offset:3072               // 00000000625C: DBC40C00 78000005
	ds_read_b64_tr_b8 a[122:123], v6 offset:3072               // 000000006264: DBC40C00 7A000006
	ds_read_b64_tr_b8 a[124:125], v5 offset:21504              // 00000000626C: DBC45400 7C000005
	ds_read_b64_tr_b8 a[126:127], v6 offset:21504              // 000000006274: DBC45400 7E000006
	ds_read_b64_tr_b8 a[128:129], v7 offset:3072               // 00000000627C: DBC40C00 80000007
	ds_read_b64_tr_b8 a[130:131], v8 offset:3072               // 000000006284: DBC40C00 82000008
	ds_read_b64_tr_b8 a[132:133], v7 offset:21504              // 00000000628C: DBC45400 84000007
	ds_read_b64_tr_b8 a[134:135], v8 offset:21504              // 000000006294: DBC45400 86000008
	s_cmp_le_i32 s83, s82                                      // 00000000629C: BF055253
	s_cbranch_scc1 label_42F4                                  // 0000000062A0: BF8500D4
	v_mov_b32_e32 v28, s82                                     // 0000000062A4: 7E380252
	s_cmp_eq_i32 s81, 1                                        // 0000000062A8: BF008151
	s_cbranch_scc1 label_3FD0                                  // 0000000062AC: BF850008
	s_cmp_eq_i32 s81, 2                                        // 0000000062B0: BF008251
	s_cbranch_scc1 label_3FC4                                  // 0000000062B4: BF850003
	v_add_i32 v28, s7, v28                                     // 0000000062B8: D29C001C 00023807
	s_branch label_3FD0                                        // 0000000062C0: BF820003

00000000000062c4 <label_3FC4>:
	s_lshr_b32 s56, s7, 1                                      // 0000000062C4: 8F388107
	v_add_u32_e32 v28, s56, v28                                // 0000000062C8: 68383838
	s_branch label_3FD0                                        // 0000000062CC: BF820000

00000000000062d0 <label_3FD0>:
	s_sub_u32 s56, s83, 63                                     // 0000000062D0: 80B8BF53
	v_lshrrev_b32_e32 v223, 5, v0                              // 0000000062D4: 21BE0085
	v_mul_i32_i24_e32 v223, 4, v223                            // 0000000062D8: 0DBFBE84
	v_add_u32_e32 v223, s56, v223                              // 0000000062DC: 69BFBE38
	v_add_u32_e32 v224, 1, v223                                // 0000000062E0: 69C1BE81
	v_add_u32_e32 v225, 2, v223                                // 0000000062E4: 69C3BE82
	v_add_u32_e32 v226, 3, v223                                // 0000000062E8: 69C5BE83
	v_mov_b32_e32 v31, 0xff800000                              // 0000000062EC: 7E3E02FF FF800000
	v_cmp_le_i32_e64 s[36:37], v223, v28                       // 0000000062F4: D0C30024 000239DF
	s_nop 0                                                    // 0000000062FC: BF800000
	v_cndmask_b32_e64 v32, v31, v32, s[36:37]                  // 000000006300: D1000020 0092411F
	v_add_u32_e32 v223, 8, v223                                // 000000006308: 69BFBE88
	v_cmp_le_i32_e64 s[36:37], v224, v28                       // 00000000630C: D0C30024 000239E0
	s_nop 0                                                    // 000000006314: BF800000
	v_cndmask_b32_e64 v33, v31, v33, s[36:37]                  // 000000006318: D1000021 0092431F
	v_add_u32_e32 v224, 8, v224                                // 000000006320: 69C1C088
	v_cmp_le_i32_e64 s[36:37], v225, v28                       // 000000006324: D0C30024 000239E1
	s_nop 0                                                    // 00000000632C: BF800000
	v_cndmask_b32_e64 v34, v31, v34, s[36:37]                  // 000000006330: D1000022 0092451F
	v_add_u32_e32 v225, 8, v225                                // 000000006338: 69C3C288
	v_cmp_le_i32_e64 s[36:37], v226, v28                       // 00000000633C: D0C30024 000239E2
	s_nop 0                                                    // 000000006344: BF800000
	v_cndmask_b32_e64 v35, v31, v35, s[36:37]                  // 000000006348: D1000023 0092471F
	v_add_u32_e32 v226, 8, v226                                // 000000006350: 69C5C488
	v_cmp_le_i32_e64 s[36:37], v223, v28                       // 000000006354: D0C30024 000239DF
	s_nop 0                                                    // 00000000635C: BF800000
	v_cndmask_b32_e64 v36, v31, v36, s[36:37]                  // 000000006360: D1000024 0092491F
	v_add_u32_e32 v223, 8, v223                                // 000000006368: 69BFBE88
	v_cmp_le_i32_e64 s[36:37], v224, v28                       // 00000000636C: D0C30024 000239E0
	s_nop 0                                                    // 000000006374: BF800000
	v_cndmask_b32_e64 v37, v31, v37, s[36:37]                  // 000000006378: D1000025 00924B1F
	v_add_u32_e32 v224, 8, v224                                // 000000006380: 69C1C088
	v_cmp_le_i32_e64 s[36:37], v225, v28                       // 000000006384: D0C30024 000239E1
	s_nop 0                                                    // 00000000638C: BF800000
	v_cndmask_b32_e64 v38, v31, v38, s[36:37]                  // 000000006390: D1000026 00924D1F
	v_add_u32_e32 v225, 8, v225                                // 000000006398: 69C3C288
	v_cmp_le_i32_e64 s[36:37], v226, v28                       // 00000000639C: D0C30024 000239E2
	s_nop 0                                                    // 0000000063A4: BF800000
	v_cndmask_b32_e64 v39, v31, v39, s[36:37]                  // 0000000063A8: D1000027 00924F1F
	v_add_u32_e32 v226, 8, v226                                // 0000000063B0: 69C5C488
	v_cmp_le_i32_e64 s[36:37], v223, v28                       // 0000000063B4: D0C30024 000239DF
	s_nop 0                                                    // 0000000063BC: BF800000
	v_cndmask_b32_e64 v40, v31, v40, s[36:37]                  // 0000000063C0: D1000028 0092511F
	v_add_u32_e32 v223, 8, v223                                // 0000000063C8: 69BFBE88
	v_cmp_le_i32_e64 s[36:37], v224, v28                       // 0000000063CC: D0C30024 000239E0
	s_nop 0                                                    // 0000000063D4: BF800000
	v_cndmask_b32_e64 v41, v31, v41, s[36:37]                  // 0000000063D8: D1000029 0092531F
	v_add_u32_e32 v224, 8, v224                                // 0000000063E0: 69C1C088
	v_cmp_le_i32_e64 s[36:37], v225, v28                       // 0000000063E4: D0C30024 000239E1
	s_nop 0                                                    // 0000000063EC: BF800000
	v_cndmask_b32_e64 v42, v31, v42, s[36:37]                  // 0000000063F0: D100002A 0092551F
	v_add_u32_e32 v225, 8, v225                                // 0000000063F8: 69C3C288
	v_cmp_le_i32_e64 s[36:37], v226, v28                       // 0000000063FC: D0C30024 000239E2
	s_nop 0                                                    // 000000006404: BF800000
	v_cndmask_b32_e64 v43, v31, v43, s[36:37]                  // 000000006408: D100002B 0092571F
	v_add_u32_e32 v226, 8, v226                                // 000000006410: 69C5C488
	v_cmp_le_i32_e64 s[36:37], v223, v28                       // 000000006414: D0C30024 000239DF
	s_nop 0                                                    // 00000000641C: BF800000
	v_cndmask_b32_e64 v44, v31, v44, s[36:37]                  // 000000006420: D100002C 0092591F
	v_add_u32_e32 v223, 8, v223                                // 000000006428: 69BFBE88
	v_cmp_le_i32_e64 s[36:37], v224, v28                       // 00000000642C: D0C30024 000239E0
	s_nop 0                                                    // 000000006434: BF800000
	v_cndmask_b32_e64 v45, v31, v45, s[36:37]                  // 000000006438: D100002D 00925B1F
	v_add_u32_e32 v224, 8, v224                                // 000000006440: 69C1C088
	v_cmp_le_i32_e64 s[36:37], v225, v28                       // 000000006444: D0C30024 000239E1
	s_nop 0                                                    // 00000000644C: BF800000
	v_cndmask_b32_e64 v46, v31, v46, s[36:37]                  // 000000006450: D100002E 00925D1F
	v_add_u32_e32 v225, 8, v225                                // 000000006458: 69C3C288
	v_cmp_le_i32_e64 s[36:37], v226, v28                       // 00000000645C: D0C30024 000239E2
	s_nop 0                                                    // 000000006464: BF800000
	v_cndmask_b32_e64 v47, v31, v47, s[36:37]                  // 000000006468: D100002F 00925F1F
	v_add_u32_e32 v226, 8, v226                                // 000000006470: 69C5C488
	v_cmp_le_i32_e64 s[36:37], v223, v28                       // 000000006474: D0C30024 000239DF
	s_nop 0                                                    // 00000000647C: BF800000
	v_cndmask_b32_e64 v48, v31, v48, s[36:37]                  // 000000006480: D1000030 0092611F
	v_add_u32_e32 v223, 8, v223                                // 000000006488: 69BFBE88
	v_cmp_le_i32_e64 s[36:37], v224, v28                       // 00000000648C: D0C30024 000239E0
	s_nop 0                                                    // 000000006494: BF800000
	v_cndmask_b32_e64 v49, v31, v49, s[36:37]                  // 000000006498: D1000031 0092631F
	v_add_u32_e32 v224, 8, v224                                // 0000000064A0: 69C1C088
	v_cmp_le_i32_e64 s[36:37], v225, v28                       // 0000000064A4: D0C30024 000239E1
	s_nop 0                                                    // 0000000064AC: BF800000
	v_cndmask_b32_e64 v50, v31, v50, s[36:37]                  // 0000000064B0: D1000032 0092651F
	v_add_u32_e32 v225, 8, v225                                // 0000000064B8: 69C3C288
	v_cmp_le_i32_e64 s[36:37], v226, v28                       // 0000000064BC: D0C30024 000239E2
	s_nop 0                                                    // 0000000064C4: BF800000
	v_cndmask_b32_e64 v51, v31, v51, s[36:37]                  // 0000000064C8: D1000033 0092671F
	v_add_u32_e32 v226, 8, v226                                // 0000000064D0: 69C5C488
	v_cmp_le_i32_e64 s[36:37], v223, v28                       // 0000000064D4: D0C30024 000239DF
	s_nop 0                                                    // 0000000064DC: BF800000
	v_cndmask_b32_e64 v52, v31, v52, s[36:37]                  // 0000000064E0: D1000034 0092691F
	v_add_u32_e32 v223, 8, v223                                // 0000000064E8: 69BFBE88
	v_cmp_le_i32_e64 s[36:37], v224, v28                       // 0000000064EC: D0C30024 000239E0
	s_nop 0                                                    // 0000000064F4: BF800000
	v_cndmask_b32_e64 v53, v31, v53, s[36:37]                  // 0000000064F8: D1000035 00926B1F
	v_add_u32_e32 v224, 8, v224                                // 000000006500: 69C1C088
	v_cmp_le_i32_e64 s[36:37], v225, v28                       // 000000006504: D0C30024 000239E1
	s_nop 0                                                    // 00000000650C: BF800000
	v_cndmask_b32_e64 v54, v31, v54, s[36:37]                  // 000000006510: D1000036 00926D1F
	v_add_u32_e32 v225, 8, v225                                // 000000006518: 69C3C288
	v_cmp_le_i32_e64 s[36:37], v226, v28                       // 00000000651C: D0C30024 000239E2
	s_nop 0                                                    // 000000006524: BF800000
	v_cndmask_b32_e64 v55, v31, v55, s[36:37]                  // 000000006528: D1000037 00926F1F
	v_add_u32_e32 v226, 8, v226                                // 000000006530: 69C5C488
	v_cmp_le_i32_e64 s[36:37], v223, v28                       // 000000006534: D0C30024 000239DF
	s_nop 0                                                    // 00000000653C: BF800000
	v_cndmask_b32_e64 v56, v31, v56, s[36:37]                  // 000000006540: D1000038 0092711F
	v_add_u32_e32 v223, 8, v223                                // 000000006548: 69BFBE88
	v_cmp_le_i32_e64 s[36:37], v224, v28                       // 00000000654C: D0C30024 000239E0
	s_nop 0                                                    // 000000006554: BF800000
	v_cndmask_b32_e64 v57, v31, v57, s[36:37]                  // 000000006558: D1000039 0092731F
	v_add_u32_e32 v224, 8, v224                                // 000000006560: 69C1C088
	v_cmp_le_i32_e64 s[36:37], v225, v28                       // 000000006564: D0C30024 000239E1
	s_nop 0                                                    // 00000000656C: BF800000
	v_cndmask_b32_e64 v58, v31, v58, s[36:37]                  // 000000006570: D100003A 0092751F
	v_add_u32_e32 v225, 8, v225                                // 000000006578: 69C3C288
	v_cmp_le_i32_e64 s[36:37], v226, v28                       // 00000000657C: D0C30024 000239E2
	s_nop 0                                                    // 000000006584: BF800000
	v_cndmask_b32_e64 v59, v31, v59, s[36:37]                  // 000000006588: D100003B 0092771F
	v_add_u32_e32 v226, 8, v226                                // 000000006590: 69C5C488
	v_cmp_le_i32_e64 s[36:37], v223, v28                       // 000000006594: D0C30024 000239DF
	s_nop 0                                                    // 00000000659C: BF800000
	v_cndmask_b32_e64 v60, v31, v60, s[36:37]                  // 0000000065A0: D100003C 0092791F
	v_add_u32_e32 v223, 8, v223                                // 0000000065A8: 69BFBE88
	v_cmp_le_i32_e64 s[36:37], v224, v28                       // 0000000065AC: D0C30024 000239E0
	s_nop 0                                                    // 0000000065B4: BF800000
	v_cndmask_b32_e64 v61, v31, v61, s[36:37]                  // 0000000065B8: D100003D 00927B1F
	v_add_u32_e32 v224, 8, v224                                // 0000000065C0: 69C1C088
	v_cmp_le_i32_e64 s[36:37], v225, v28                       // 0000000065C4: D0C30024 000239E1
	s_nop 0                                                    // 0000000065CC: BF800000
	v_cndmask_b32_e64 v62, v31, v62, s[36:37]                  // 0000000065D0: D100003E 00927D1F
	v_add_u32_e32 v225, 8, v225                                // 0000000065D8: 69C3C288
	v_cmp_le_i32_e64 s[36:37], v226, v28                       // 0000000065DC: D0C30024 000239E2
	s_nop 0                                                    // 0000000065E4: BF800000
	v_cndmask_b32_e64 v63, v31, v63, s[36:37]                  // 0000000065E8: D100003F 00927F1F
	v_add_u32_e32 v226, 8, v226                                // 0000000065F0: 69C5C488

00000000000065f4 <label_42F4>:
	s_add_u32 s83, s84, s83                                    // 0000000065F4: 80535354
	s_nop 2                                                    // 0000000065F8: BF800002
	v_mov_b32_e32 v29, v32                                     // 0000000065FC: 7E3A0320
	v_max3_f32 v29, v32, v33, v29                              // 000000006600: D1D3001D 04764320
	v_max3_f32 v29, v34, v35, v29                              // 000000006608: D1D3001D 04764722
	v_max3_f32 v29, v36, v37, v29                              // 000000006610: D1D3001D 04764B24
	v_max3_f32 v29, v38, v39, v29                              // 000000006618: D1D3001D 04764F26
	v_max3_f32 v29, v40, v41, v29                              // 000000006620: D1D3001D 04765328
	v_max3_f32 v29, v42, v43, v29                              // 000000006628: D1D3001D 0476572A
	v_max3_f32 v29, v44, v45, v29                              // 000000006630: D1D3001D 04765B2C
	v_max3_f32 v29, v46, v47, v29                              // 000000006638: D1D3001D 04765F2E
	v_max3_f32 v29, v48, v49, v29                              // 000000006640: D1D3001D 04766330
	v_max3_f32 v29, v50, v51, v29                              // 000000006648: D1D3001D 04766732
	v_max3_f32 v29, v52, v53, v29                              // 000000006650: D1D3001D 04766B34
	v_max3_f32 v29, v54, v55, v29                              // 000000006658: D1D3001D 04766F36
	v_max3_f32 v29, v56, v57, v29                              // 000000006660: D1D3001D 04767338
	v_max3_f32 v29, v58, v59, v29                              // 000000006668: D1D3001D 0476773A
	v_max3_f32 v29, v60, v61, v29                              // 000000006670: D1D3001D 04767B3C
	v_max3_f32 v29, v62, v63, v29                              // 000000006678: D1D3001D 04767F3E
	v_mov_b32_e32 v28, v29                                     // 000000006680: 7E38031D
	v_mov_b32_e32 v29, v29                                     // 000000006684: 7E3A031D
	s_nop 1                                                    // 000000006688: BF800001
	v_permlane32_swap_b32_e32 v28, v29                         // 00000000668C: 7E38B51D
	v_max3_f32 v29, v28, v29, v29                              // 000000006690: D1D3001D 04763B1C
	v_mov_b32_e32 v28, 0xff800000                              // 000000006698: 7E3802FF FF800000
	v_cmp_eq_u32_e64 s[36:37], v28, v2                         // 0000000066A0: D0CA0024 0002051C
	v_max_f32_e32 v29, v29, v2                                 // 0000000066A8: 163A051D
	v_sub_f32_e32 v17, v2, v29                                 // 0000000066AC: 04223B02
	v_cndmask_b32_e64 v17, v17, 0, s[36:37]                    // 0000000066B0: D1000011 00910111
	v_mov_b32_e32 v2, v29                                      // 0000000066B8: 7E04031D
	v_mul_f32_e32 v29, s5, v29                                 // 0000000066BC: 0A3A3A05
	v_mul_f32_e32 v17, s5, v17                                 // 0000000066C0: 0A222205
	v_exp_f32_e32 v17, v17                                     // 0000000066C4: 7E224111
	v_fma_f32 v32, v32, s5, -v29                               // 0000000066C8: D1CB0020 84740B20
	v_fma_f32 v33, v33, s5, -v29                               // 0000000066D0: D1CB0021 84740B21
	v_fma_f32 v34, v34, s5, -v29                               // 0000000066D8: D1CB0022 84740B22
	v_fma_f32 v35, v35, s5, -v29                               // 0000000066E0: D1CB0023 84740B23
	v_fma_f32 v36, v36, s5, -v29                               // 0000000066E8: D1CB0024 84740B24
	v_fma_f32 v37, v37, s5, -v29                               // 0000000066F0: D1CB0025 84740B25
	v_fma_f32 v38, v38, s5, -v29                               // 0000000066F8: D1CB0026 84740B26
	v_fma_f32 v39, v39, s5, -v29                               // 000000006700: D1CB0027 84740B27
	v_fma_f32 v40, v40, s5, -v29                               // 000000006708: D1CB0028 84740B28
	v_fma_f32 v41, v41, s5, -v29                               // 000000006710: D1CB0029 84740B29
	v_fma_f32 v42, v42, s5, -v29                               // 000000006718: D1CB002A 84740B2A
	v_fma_f32 v43, v43, s5, -v29                               // 000000006720: D1CB002B 84740B2B
	v_fma_f32 v44, v44, s5, -v29                               // 000000006728: D1CB002C 84740B2C
	v_fma_f32 v45, v45, s5, -v29                               // 000000006730: D1CB002D 84740B2D
	v_fma_f32 v46, v46, s5, -v29                               // 000000006738: D1CB002E 84740B2E
	v_fma_f32 v47, v47, s5, -v29                               // 000000006740: D1CB002F 84740B2F
	v_fma_f32 v48, v48, s5, -v29                               // 000000006748: D1CB0030 84740B30
	v_fma_f32 v49, v49, s5, -v29                               // 000000006750: D1CB0031 84740B31
	v_fma_f32 v50, v50, s5, -v29                               // 000000006758: D1CB0032 84740B32
	v_fma_f32 v51, v51, s5, -v29                               // 000000006760: D1CB0033 84740B33
	v_fma_f32 v52, v52, s5, -v29                               // 000000006768: D1CB0034 84740B34
	v_fma_f32 v53, v53, s5, -v29                               // 000000006770: D1CB0035 84740B35
	v_fma_f32 v54, v54, s5, -v29                               // 000000006778: D1CB0036 84740B36
	v_fma_f32 v55, v55, s5, -v29                               // 000000006780: D1CB0037 84740B37
	v_fma_f32 v56, v56, s5, -v29                               // 000000006788: D1CB0038 84740B38
	v_fma_f32 v57, v57, s5, -v29                               // 000000006790: D1CB0039 84740B39
	v_fma_f32 v58, v58, s5, -v29                               // 000000006798: D1CB003A 84740B3A
	v_fma_f32 v59, v59, s5, -v29                               // 0000000067A0: D1CB003B 84740B3B
	v_fma_f32 v60, v60, s5, -v29                               // 0000000067A8: D1CB003C 84740B3C
	v_fma_f32 v61, v61, s5, -v29                               // 0000000067B0: D1CB003D 84740B3D
	v_fma_f32 v62, v62, s5, -v29                               // 0000000067B8: D1CB003E 84740B3E
	v_fma_f32 v63, v63, s5, -v29                               // 0000000067C0: D1CB003F 84740B3F
	v_exp_f32_e32 v32, v32                                     // 0000000067C8: 7E404120
	v_exp_f32_e32 v33, v33                                     // 0000000067CC: 7E424121
	v_exp_f32_e32 v34, v34                                     // 0000000067D0: 7E444122
	v_exp_f32_e32 v35, v35                                     // 0000000067D4: 7E464123
	v_exp_f32_e32 v36, v36                                     // 0000000067D8: 7E484124
	v_exp_f32_e32 v37, v37                                     // 0000000067DC: 7E4A4125
	v_exp_f32_e32 v38, v38                                     // 0000000067E0: 7E4C4126
	v_exp_f32_e32 v39, v39                                     // 0000000067E4: 7E4E4127
	v_exp_f32_e32 v40, v40                                     // 0000000067E8: 7E504128
	v_exp_f32_e32 v41, v41                                     // 0000000067EC: 7E524129
	v_exp_f32_e32 v42, v42                                     // 0000000067F0: 7E54412A
	v_exp_f32_e32 v43, v43                                     // 0000000067F4: 7E56412B
	v_exp_f32_e32 v44, v44                                     // 0000000067F8: 7E58412C
	v_exp_f32_e32 v45, v45                                     // 0000000067FC: 7E5A412D
	v_exp_f32_e32 v46, v46                                     // 000000006800: 7E5C412E
	v_exp_f32_e32 v47, v47                                     // 000000006804: 7E5E412F
	v_exp_f32_e32 v48, v48                                     // 000000006808: 7E604130
	v_exp_f32_e32 v49, v49                                     // 00000000680C: 7E624131
	v_exp_f32_e32 v50, v50                                     // 000000006810: 7E644132
	v_exp_f32_e32 v51, v51                                     // 000000006814: 7E664133
	v_exp_f32_e32 v52, v52                                     // 000000006818: 7E684134
	v_exp_f32_e32 v53, v53                                     // 00000000681C: 7E6A4135
	v_exp_f32_e32 v54, v54                                     // 000000006820: 7E6C4136
	v_exp_f32_e32 v55, v55                                     // 000000006824: 7E6E4137
	v_exp_f32_e32 v56, v56                                     // 000000006828: 7E704138
	v_exp_f32_e32 v57, v57                                     // 00000000682C: 7E724139
	v_exp_f32_e32 v58, v58                                     // 000000006830: 7E74413A
	v_exp_f32_e32 v59, v59                                     // 000000006834: 7E76413B
	v_exp_f32_e32 v60, v60                                     // 000000006838: 7E78413C
	v_exp_f32_e32 v61, v61                                     // 00000000683C: 7E7A413D
	v_exp_f32_e32 v62, v62                                     // 000000006840: 7E7C413E
	v_exp_f32_e32 v63, v63                                     // 000000006844: 7E7E413F
	v_mul_f32_e32 v4, v17, v4                                  // 000000006848: 0A080911
	v_mov_b32_e32 v28, v32                                     // 00000000684C: 7E380320
	v_add_f32_e32 v28, v33, v28                                // 000000006850: 02383921
	v_add_f32_e32 v28, v34, v28                                // 000000006854: 02383922
	;; [unrolled: 1-line block ×3, first 2 shown]
	v_add_f32_e32 v28, v36, v28                                // 00000000685C: 02383924
	v_add_f32_e32 v28, v37, v28                                // 000000006860: 02383925
	v_add_f32_e32 v28, v38, v28                                // 000000006864: 02383926
	;; [unrolled: 1-line block ×3, first 2 shown]
	v_add_f32_e32 v28, v40, v28                                // 00000000686C: 02383928
	v_add_f32_e32 v28, v41, v28                                // 000000006870: 02383929
	v_add_f32_e32 v28, v42, v28                                // 000000006874: 0238392A
	v_add_f32_e32 v28, v43, v28                                // 000000006878: 0238392B
	v_add_f32_e32 v28, v44, v28                                // 00000000687C: 0238392C
	v_add_f32_e32 v28, v45, v28                                // 000000006880: 0238392D
	v_add_f32_e32 v28, v46, v28                                // 000000006884: 0238392E
	v_add_f32_e32 v28, v47, v28                                // 000000006888: 0238392F
	v_add_f32_e32 v28, v48, v28                                // 00000000688C: 02383930
	v_add_f32_e32 v28, v49, v28                                // 000000006890: 02383931
	v_add_f32_e32 v28, v50, v28                                // 000000006894: 02383932
	;; [unrolled: 1-line block ×3, first 2 shown]
	v_add_f32_e32 v28, v52, v28                                // 00000000689C: 02383934
	v_add_f32_e32 v28, v53, v28                                // 0000000068A0: 02383935
	v_add_f32_e32 v28, v54, v28                                // 0000000068A4: 02383936
	v_add_f32_e32 v28, v55, v28                                // 0000000068A8: 02383937
	v_add_f32_e32 v28, v56, v28                                // 0000000068AC: 02383938
	v_add_f32_e32 v28, v57, v28                                // 0000000068B0: 02383939
	v_add_f32_e32 v28, v58, v28                                // 0000000068B4: 0238393A
	v_add_f32_e32 v28, v59, v28                                // 0000000068B8: 0238393B
	v_add_f32_e32 v28, v60, v28                                // 0000000068BC: 0238393C
	v_add_f32_e32 v28, v61, v28                                // 0000000068C0: 0238393D
	v_add_f32_e32 v28, v62, v28                                // 0000000068C4: 0238393E
	v_add_f32_e32 v28, v63, v28                                // 0000000068C8: 0238393F
	v_add_f32_e32 v4, v28, v4                                  // 0000000068CC: 0208091C
	v_cvt_pk_fp8_f32 v32, v32, v33                             // 0000000068D0: D2A20020 00024320
	v_cvt_pk_fp8_f32 v32, v34, v35 op_sel:[0,0,1]              // 0000000068D8: D2A24020 00024722
	v_cvt_pk_fp8_f32 v33, v36, v37                             // 0000000068E0: D2A20021 00024B24
	v_cvt_pk_fp8_f32 v33, v38, v39 op_sel:[0,0,1]              // 0000000068E8: D2A24021 00024F26
	v_cvt_pk_fp8_f32 v34, v40, v41                             // 0000000068F0: D2A20022 00025328
	v_cvt_pk_fp8_f32 v34, v42, v43 op_sel:[0,0,1]              // 0000000068F8: D2A24022 0002572A
	v_cvt_pk_fp8_f32 v35, v44, v45                             // 000000006900: D2A20023 00025B2C
	v_cvt_pk_fp8_f32 v35, v46, v47 op_sel:[0,0,1]              // 000000006908: D2A24023 00025F2E
	v_cvt_pk_fp8_f32 v36, v48, v49                             // 000000006910: D2A20024 00026330
	v_cvt_pk_fp8_f32 v36, v50, v51 op_sel:[0,0,1]              // 000000006918: D2A24024 00026732
	v_cvt_pk_fp8_f32 v37, v52, v53                             // 000000006920: D2A20025 00026B34
	v_cvt_pk_fp8_f32 v37, v54, v55 op_sel:[0,0,1]              // 000000006928: D2A24025 00026F36
	v_cvt_pk_fp8_f32 v38, v56, v57                             // 000000006930: D2A20026 00027338
	v_cvt_pk_fp8_f32 v38, v58, v59 op_sel:[0,0,1]              // 000000006938: D2A24026 0002773A
	v_cvt_pk_fp8_f32 v39, v60, v61                             // 000000006940: D2A20027 00027B3C
	v_cvt_pk_fp8_f32 v39, v62, v63 op_sel:[0,0,1]              // 000000006948: D2A24027 00027F3E
	v_permlane32_swap_b32_e32 v32, v34                         // 000000006950: 7E40B522
	v_permlane32_swap_b32_e32 v33, v35                         // 000000006954: 7E42B523
	v_swap_b32 v33, v34                                        // 000000006958: 7E42A322
	v_permlane32_swap_b32_e32 v36, v38                         // 00000000695C: 7E48B526
	v_permlane32_swap_b32_e32 v37, v39                         // 000000006960: 7E4AB527
	v_swap_b32 v37, v38                                        // 000000006964: 7E4AA326
	v_mov_b32_e32 v28, v17                                     // 000000006968: 7E380311
	v_mul_f32_e32 v64, v28, v64                                // 00000000696C: 0A80811C
	v_mul_f32_e32 v65, v28, v65                                // 000000006970: 0A82831C
	v_mul_f32_e32 v66, v28, v66                                // 000000006974: 0A84851C
	v_mul_f32_e32 v67, v28, v67                                // 000000006978: 0A86871C
	v_mul_f32_e32 v68, v28, v68                                // 00000000697C: 0A88891C
	v_mul_f32_e32 v69, v28, v69                                // 000000006980: 0A8A8B1C
	v_mul_f32_e32 v70, v28, v70                                // 000000006984: 0A8C8D1C
	v_mul_f32_e32 v71, v28, v71                                // 000000006988: 0A8E8F1C
	v_mul_f32_e32 v72, v28, v72                                // 00000000698C: 0A90911C
	v_mul_f32_e32 v73, v28, v73                                // 000000006990: 0A92931C
	v_mul_f32_e32 v74, v28, v74                                // 000000006994: 0A94951C
	v_mul_f32_e32 v75, v28, v75                                // 000000006998: 0A96971C
	v_mul_f32_e32 v76, v28, v76                                // 00000000699C: 0A98991C
	v_mul_f32_e32 v77, v28, v77                                // 0000000069A0: 0A9A9B1C
	v_mul_f32_e32 v78, v28, v78                                // 0000000069A4: 0A9C9D1C
	v_mul_f32_e32 v79, v28, v79                                // 0000000069A8: 0A9E9F1C
	v_mul_f32_e32 v80, v28, v80                                // 0000000069AC: 0AA0A11C
	v_mul_f32_e32 v81, v28, v81                                // 0000000069B0: 0AA2A31C
	v_mul_f32_e32 v82, v28, v82                                // 0000000069B4: 0AA4A51C
	v_mul_f32_e32 v83, v28, v83                                // 0000000069B8: 0AA6A71C
	v_mul_f32_e32 v84, v28, v84                                // 0000000069BC: 0AA8A91C
	v_mul_f32_e32 v85, v28, v85                                // 0000000069C0: 0AAAAB1C
	v_mul_f32_e32 v86, v28, v86                                // 0000000069C4: 0AACAD1C
	v_mul_f32_e32 v87, v28, v87                                // 0000000069C8: 0AAEAF1C
	v_mul_f32_e32 v88, v28, v88                                // 0000000069CC: 0AB0B11C
	v_mul_f32_e32 v89, v28, v89                                // 0000000069D0: 0AB2B31C
	v_mul_f32_e32 v90, v28, v90                                // 0000000069D4: 0AB4B51C
	v_mul_f32_e32 v91, v28, v91                                // 0000000069D8: 0AB6B71C
	v_mul_f32_e32 v92, v28, v92                                // 0000000069DC: 0AB8B91C
	v_mul_f32_e32 v93, v28, v93                                // 0000000069E0: 0ABABB1C
	v_mul_f32_e32 v94, v28, v94                                // 0000000069E4: 0ABCBD1C
	v_mul_f32_e32 v95, v28, v95                                // 0000000069E8: 0ABEBF1C
	v_mul_f32_e32 v96, v28, v96                                // 0000000069EC: 0AC0C11C
	v_mul_f32_e32 v97, v28, v97                                // 0000000069F0: 0AC2C31C
	v_mul_f32_e32 v98, v28, v98                                // 0000000069F4: 0AC4C51C
	v_mul_f32_e32 v99, v28, v99                                // 0000000069F8: 0AC6C71C
	v_mul_f32_e32 v100, v28, v100                              // 0000000069FC: 0AC8C91C
	v_mul_f32_e32 v101, v28, v101                              // 000000006A00: 0ACACB1C
	v_mul_f32_e32 v102, v28, v102                              // 000000006A04: 0ACCCD1C
	v_mul_f32_e32 v103, v28, v103                              // 000000006A08: 0ACECF1C
	v_mul_f32_e32 v104, v28, v104                              // 000000006A0C: 0AD0D11C
	v_mul_f32_e32 v105, v28, v105                              // 000000006A10: 0AD2D31C
	v_mul_f32_e32 v106, v28, v106                              // 000000006A14: 0AD4D51C
	v_mul_f32_e32 v107, v28, v107                              // 000000006A18: 0AD6D71C
	v_mul_f32_e32 v108, v28, v108                              // 000000006A1C: 0AD8D91C
	v_mul_f32_e32 v109, v28, v109                              // 000000006A20: 0ADADB1C
	v_mul_f32_e32 v110, v28, v110                              // 000000006A24: 0ADCDD1C
	v_mul_f32_e32 v111, v28, v111                              // 000000006A28: 0ADEDF1C
	v_mul_f32_e32 v112, v28, v112                              // 000000006A2C: 0AE0E11C
	v_mul_f32_e32 v113, v28, v113                              // 000000006A30: 0AE2E31C
	v_mul_f32_e32 v114, v28, v114                              // 000000006A34: 0AE4E51C
	v_mul_f32_e32 v115, v28, v115                              // 000000006A38: 0AE6E71C
	v_mul_f32_e32 v116, v28, v116                              // 000000006A3C: 0AE8E91C
	v_mul_f32_e32 v117, v28, v117                              // 000000006A40: 0AEAEB1C
	v_mul_f32_e32 v118, v28, v118                              // 000000006A44: 0AECED1C
	v_mul_f32_e32 v119, v28, v119                              // 000000006A48: 0AEEEF1C
	v_mul_f32_e32 v120, v28, v120                              // 000000006A4C: 0AF0F11C
	v_mul_f32_e32 v121, v28, v121                              // 000000006A50: 0AF2F31C
	v_mul_f32_e32 v122, v28, v122                              // 000000006A54: 0AF4F51C
	v_mul_f32_e32 v123, v28, v123                              // 000000006A58: 0AF6F71C
	v_mul_f32_e32 v124, v28, v124                              // 000000006A5C: 0AF8F91C
	v_mul_f32_e32 v125, v28, v125                              // 000000006A60: 0AFAFB1C
	v_mul_f32_e32 v126, v28, v126                              // 000000006A64: 0AFCFD1C
	v_mul_f32_e32 v127, v28, v127                              // 000000006A68: 0AFEFF1C
	v_mul_f32_e32 v128, v28, v128                              // 000000006A6C: 0B01011C
	v_mul_f32_e32 v129, v28, v129                              // 000000006A70: 0B03031C
	v_mul_f32_e32 v130, v28, v130                              // 000000006A74: 0B05051C
	v_mul_f32_e32 v131, v28, v131                              // 000000006A78: 0B07071C
	v_mul_f32_e32 v132, v28, v132                              // 000000006A7C: 0B09091C
	v_mul_f32_e32 v133, v28, v133                              // 000000006A80: 0B0B0B1C
	v_mul_f32_e32 v134, v28, v134                              // 000000006A84: 0B0D0D1C
	v_mul_f32_e32 v135, v28, v135                              // 000000006A88: 0B0F0F1C
	v_mul_f32_e32 v136, v28, v136                              // 000000006A8C: 0B11111C
	v_mul_f32_e32 v137, v28, v137                              // 000000006A90: 0B13131C
	v_mul_f32_e32 v138, v28, v138                              // 000000006A94: 0B15151C
	v_mul_f32_e32 v139, v28, v139                              // 000000006A98: 0B17171C
	v_mul_f32_e32 v140, v28, v140                              // 000000006A9C: 0B19191C
	v_mul_f32_e32 v141, v28, v141                              // 000000006AA0: 0B1B1B1C
	v_mul_f32_e32 v142, v28, v142                              // 000000006AA4: 0B1D1D1C
	v_mul_f32_e32 v143, v28, v143                              // 000000006AA8: 0B1F1F1C
	v_mul_f32_e32 v144, v28, v144                              // 000000006AAC: 0B21211C
	v_mul_f32_e32 v145, v28, v145                              // 000000006AB0: 0B23231C
	v_mul_f32_e32 v146, v28, v146                              // 000000006AB4: 0B25251C
	v_mul_f32_e32 v147, v28, v147                              // 000000006AB8: 0B27271C
	v_mul_f32_e32 v148, v28, v148                              // 000000006ABC: 0B29291C
	v_mul_f32_e32 v149, v28, v149                              // 000000006AC0: 0B2B2B1C
	v_mul_f32_e32 v150, v28, v150                              // 000000006AC4: 0B2D2D1C
	v_mul_f32_e32 v151, v28, v151                              // 000000006AC8: 0B2F2F1C
	v_mul_f32_e32 v152, v28, v152                              // 000000006ACC: 0B31311C
	v_mul_f32_e32 v153, v28, v153                              // 000000006AD0: 0B33331C
	v_mul_f32_e32 v154, v28, v154                              // 000000006AD4: 0B35351C
	v_mul_f32_e32 v155, v28, v155                              // 000000006AD8: 0B37371C
	v_mul_f32_e32 v156, v28, v156                              // 000000006ADC: 0B39391C
	v_mul_f32_e32 v157, v28, v157                              // 000000006AE0: 0B3B3B1C
	v_mul_f32_e32 v158, v28, v158                              // 000000006AE4: 0B3D3D1C
	v_mul_f32_e32 v159, v28, v159                              // 000000006AE8: 0B3F3F1C
	v_mul_f32_e32 v160, v28, v160                              // 000000006AEC: 0B41411C
	v_mul_f32_e32 v161, v28, v161                              // 000000006AF0: 0B43431C
	v_mul_f32_e32 v162, v28, v162                              // 000000006AF4: 0B45451C
	v_mul_f32_e32 v163, v28, v163                              // 000000006AF8: 0B47471C
	v_mul_f32_e32 v164, v28, v164                              // 000000006AFC: 0B49491C
	v_mul_f32_e32 v165, v28, v165                              // 000000006B00: 0B4B4B1C
	v_mul_f32_e32 v166, v28, v166                              // 000000006B04: 0B4D4D1C
	v_mul_f32_e32 v167, v28, v167                              // 000000006B08: 0B4F4F1C
	v_mul_f32_e32 v168, v28, v168                              // 000000006B0C: 0B51511C
	v_mul_f32_e32 v169, v28, v169                              // 000000006B10: 0B53531C
	v_mul_f32_e32 v170, v28, v170                              // 000000006B14: 0B55551C
	v_mul_f32_e32 v171, v28, v171                              // 000000006B18: 0B57571C
	v_mul_f32_e32 v172, v28, v172                              // 000000006B1C: 0B59591C
	v_mul_f32_e32 v173, v28, v173                              // 000000006B20: 0B5B5B1C
	v_mul_f32_e32 v174, v28, v174                              // 000000006B24: 0B5D5D1C
	v_mul_f32_e32 v175, v28, v175                              // 000000006B28: 0B5F5F1C
	v_mul_f32_e32 v176, v28, v176                              // 000000006B2C: 0B61611C
	v_mul_f32_e32 v177, v28, v177                              // 000000006B30: 0B63631C
	v_mul_f32_e32 v178, v28, v178                              // 000000006B34: 0B65651C
	v_mul_f32_e32 v179, v28, v179                              // 000000006B38: 0B67671C
	v_mul_f32_e32 v180, v28, v180                              // 000000006B3C: 0B69691C
	v_mul_f32_e32 v181, v28, v181                              // 000000006B40: 0B6B6B1C
	v_mul_f32_e32 v182, v28, v182                              // 000000006B44: 0B6D6D1C
	v_mul_f32_e32 v183, v28, v183                              // 000000006B48: 0B6F6F1C
	v_mul_f32_e32 v184, v28, v184                              // 000000006B4C: 0B71711C
	v_mul_f32_e32 v185, v28, v185                              // 000000006B50: 0B73731C
	v_mul_f32_e32 v186, v28, v186                              // 000000006B54: 0B75751C
	v_mul_f32_e32 v187, v28, v187                              // 000000006B58: 0B77771C
	v_mul_f32_e32 v188, v28, v188                              // 000000006B5C: 0B79791C
	v_mul_f32_e32 v189, v28, v189                              // 000000006B60: 0B7B7B1C
	v_mul_f32_e32 v190, v28, v190                              // 000000006B64: 0B7D7D1C
	v_mul_f32_e32 v191, v28, v191                              // 000000006B68: 0B7F7F1C
	v_mul_f32_e32 v192, v28, v192                              // 000000006B6C: 0B81811C
	v_mul_f32_e32 v193, v28, v193                              // 000000006B70: 0B83831C
	v_mul_f32_e32 v194, v28, v194                              // 000000006B74: 0B85851C
	v_mul_f32_e32 v195, v28, v195                              // 000000006B78: 0B87871C
	v_mul_f32_e32 v196, v28, v196                              // 000000006B7C: 0B89891C
	v_mul_f32_e32 v197, v28, v197                              // 000000006B80: 0B8B8B1C
	v_mul_f32_e32 v198, v28, v198                              // 000000006B84: 0B8D8D1C
	v_mul_f32_e32 v199, v28, v199                              // 000000006B88: 0B8F8F1C
	v_mul_f32_e32 v200, v28, v200                              // 000000006B8C: 0B91911C
	v_mul_f32_e32 v201, v28, v201                              // 000000006B90: 0B93931C
	v_mul_f32_e32 v202, v28, v202                              // 000000006B94: 0B95951C
	v_mul_f32_e32 v203, v28, v203                              // 000000006B98: 0B97971C
	v_mul_f32_e32 v204, v28, v204                              // 000000006B9C: 0B99991C
	v_mul_f32_e32 v205, v28, v205                              // 000000006BA0: 0B9B9B1C
	v_mul_f32_e32 v206, v28, v206                              // 000000006BA4: 0B9D9D1C
	v_mul_f32_e32 v207, v28, v207                              // 000000006BA8: 0B9F9F1C
	v_mul_f32_e32 v208, v28, v208                              // 000000006BAC: 0BA1A11C
	v_mul_f32_e32 v209, v28, v209                              // 000000006BB0: 0BA3A31C
	v_mul_f32_e32 v210, v28, v210                              // 000000006BB4: 0BA5A51C
	v_mul_f32_e32 v211, v28, v211                              // 000000006BB8: 0BA7A71C
	v_mul_f32_e32 v212, v28, v212                              // 000000006BBC: 0BA9A91C
	v_mul_f32_e32 v213, v28, v213                              // 000000006BC0: 0BABAB1C
	v_mul_f32_e32 v214, v28, v214                              // 000000006BC4: 0BADAD1C
	v_mul_f32_e32 v215, v28, v215                              // 000000006BC8: 0BAFAF1C
	v_mul_f32_e32 v216, v28, v216                              // 000000006BCC: 0BB1B11C
	v_mul_f32_e32 v217, v28, v217                              // 000000006BD0: 0BB3B31C
	v_mul_f32_e32 v218, v28, v218                              // 000000006BD4: 0BB5B51C
	v_mul_f32_e32 v219, v28, v219                              // 000000006BD8: 0BB7B71C
	v_mul_f32_e32 v220, v28, v220                              // 000000006BDC: 0BB9B91C
	v_mul_f32_e32 v221, v28, v221                              // 000000006BE0: 0BBBBB1C
	v_mul_f32_e32 v222, v28, v222                              // 000000006BE4: 0BBDBD1C
	v_mul_f32_e32 v223, v28, v223                              // 000000006BE8: 0BBFBF1C
	v_accvgpr_read_b32 v29, a144                               // 000000006BEC: D3D8401D 18000190
	v_mul_f32_e32 v29, v28, v29                                // 000000006BF4: 0A3A3B1C
	v_accvgpr_write_b32 a144, v29                              // 000000006BF8: D3D94090 1800011D
	v_accvgpr_read_b32 v29, a145                               // 000000006C00: D3D8401D 18000191
	v_mul_f32_e32 v29, v28, v29                                // 000000006C08: 0A3A3B1C
	v_accvgpr_write_b32 a145, v29                              // 000000006C0C: D3D94091 1800011D
	v_accvgpr_read_b32 v29, a146                               // 000000006C14: D3D8401D 18000192
	v_mul_f32_e32 v29, v28, v29                                // 000000006C1C: 0A3A3B1C
	v_accvgpr_write_b32 a146, v29                              // 000000006C20: D3D94092 1800011D
	v_accvgpr_read_b32 v29, a147                               // 000000006C28: D3D8401D 18000193
	v_mul_f32_e32 v29, v28, v29                                // 000000006C30: 0A3A3B1C
	v_accvgpr_write_b32 a147, v29                              // 000000006C34: D3D94093 1800011D
	v_accvgpr_read_b32 v29, a148                               // 000000006C3C: D3D8401D 18000194
	v_mul_f32_e32 v29, v28, v29                                // 000000006C44: 0A3A3B1C
	v_accvgpr_write_b32 a148, v29                              // 000000006C48: D3D94094 1800011D
	v_accvgpr_read_b32 v29, a149                               // 000000006C50: D3D8401D 18000195
	v_mul_f32_e32 v29, v28, v29                                // 000000006C58: 0A3A3B1C
	v_accvgpr_write_b32 a149, v29                              // 000000006C5C: D3D94095 1800011D
	v_accvgpr_read_b32 v29, a150                               // 000000006C64: D3D8401D 18000196
	v_mul_f32_e32 v29, v28, v29                                // 000000006C6C: 0A3A3B1C
	v_accvgpr_write_b32 a150, v29                              // 000000006C70: D3D94096 1800011D
	v_accvgpr_read_b32 v29, a151                               // 000000006C78: D3D8401D 18000197
	v_mul_f32_e32 v29, v28, v29                                // 000000006C80: 0A3A3B1C
	v_accvgpr_write_b32 a151, v29                              // 000000006C84: D3D94097 1800011D
	v_accvgpr_read_b32 v29, a152                               // 000000006C8C: D3D8401D 18000198
	v_mul_f32_e32 v29, v28, v29                                // 000000006C94: 0A3A3B1C
	v_accvgpr_write_b32 a152, v29                              // 000000006C98: D3D94098 1800011D
	v_accvgpr_read_b32 v29, a153                               // 000000006CA0: D3D8401D 18000199
	v_mul_f32_e32 v29, v28, v29                                // 000000006CA8: 0A3A3B1C
	v_accvgpr_write_b32 a153, v29                              // 000000006CAC: D3D94099 1800011D
	v_accvgpr_read_b32 v29, a154                               // 000000006CB4: D3D8401D 1800019A
	v_mul_f32_e32 v29, v28, v29                                // 000000006CBC: 0A3A3B1C
	v_accvgpr_write_b32 a154, v29                              // 000000006CC0: D3D9409A 1800011D
	v_accvgpr_read_b32 v29, a155                               // 000000006CC8: D3D8401D 1800019B
	v_mul_f32_e32 v29, v28, v29                                // 000000006CD0: 0A3A3B1C
	v_accvgpr_write_b32 a155, v29                              // 000000006CD4: D3D9409B 1800011D
	v_accvgpr_read_b32 v29, a156                               // 000000006CDC: D3D8401D 1800019C
	v_mul_f32_e32 v29, v28, v29                                // 000000006CE4: 0A3A3B1C
	v_accvgpr_write_b32 a156, v29                              // 000000006CE8: D3D9409C 1800011D
	v_accvgpr_read_b32 v29, a157                               // 000000006CF0: D3D8401D 1800019D
	v_mul_f32_e32 v29, v28, v29                                // 000000006CF8: 0A3A3B1C
	v_accvgpr_write_b32 a157, v29                              // 000000006CFC: D3D9409D 1800011D
	v_accvgpr_read_b32 v29, a158                               // 000000006D04: D3D8401D 1800019E
	v_mul_f32_e32 v29, v28, v29                                // 000000006D0C: 0A3A3B1C
	v_accvgpr_write_b32 a158, v29                              // 000000006D10: D3D9409E 1800011D
	v_accvgpr_read_b32 v29, a159                               // 000000006D18: D3D8401D 1800019F
	v_mul_f32_e32 v29, v28, v29                                // 000000006D20: 0A3A3B1C
	v_accvgpr_write_b32 a159, v29                              // 000000006D24: D3D9409F 1800011D
	v_accvgpr_read_b32 v29, a160                               // 000000006D2C: D3D8401D 180001A0
	v_mul_f32_e32 v29, v28, v29                                // 000000006D34: 0A3A3B1C
	v_accvgpr_write_b32 a160, v29                              // 000000006D38: D3D940A0 1800011D
	v_accvgpr_read_b32 v29, a161                               // 000000006D40: D3D8401D 180001A1
	v_mul_f32_e32 v29, v28, v29                                // 000000006D48: 0A3A3B1C
	v_accvgpr_write_b32 a161, v29                              // 000000006D4C: D3D940A1 1800011D
	v_accvgpr_read_b32 v29, a162                               // 000000006D54: D3D8401D 180001A2
	v_mul_f32_e32 v29, v28, v29                                // 000000006D5C: 0A3A3B1C
	v_accvgpr_write_b32 a162, v29                              // 000000006D60: D3D940A2 1800011D
	v_accvgpr_read_b32 v29, a163                               // 000000006D68: D3D8401D 180001A3
	v_mul_f32_e32 v29, v28, v29                                // 000000006D70: 0A3A3B1C
	v_accvgpr_write_b32 a163, v29                              // 000000006D74: D3D940A3 1800011D
	v_accvgpr_read_b32 v29, a164                               // 000000006D7C: D3D8401D 180001A4
	v_mul_f32_e32 v29, v28, v29                                // 000000006D84: 0A3A3B1C
	v_accvgpr_write_b32 a164, v29                              // 000000006D88: D3D940A4 1800011D
	v_accvgpr_read_b32 v29, a165                               // 000000006D90: D3D8401D 180001A5
	v_mul_f32_e32 v29, v28, v29                                // 000000006D98: 0A3A3B1C
	v_accvgpr_write_b32 a165, v29                              // 000000006D9C: D3D940A5 1800011D
	v_accvgpr_read_b32 v29, a166                               // 000000006DA4: D3D8401D 180001A6
	v_mul_f32_e32 v29, v28, v29                                // 000000006DAC: 0A3A3B1C
	v_accvgpr_write_b32 a166, v29                              // 000000006DB0: D3D940A6 1800011D
	v_accvgpr_read_b32 v29, a167                               // 000000006DB8: D3D8401D 180001A7
	v_mul_f32_e32 v29, v28, v29                                // 000000006DC0: 0A3A3B1C
	v_accvgpr_write_b32 a167, v29                              // 000000006DC4: D3D940A7 1800011D
	v_accvgpr_read_b32 v29, a168                               // 000000006DCC: D3D8401D 180001A8
	v_mul_f32_e32 v29, v28, v29                                // 000000006DD4: 0A3A3B1C
	v_accvgpr_write_b32 a168, v29                              // 000000006DD8: D3D940A8 1800011D
	v_accvgpr_read_b32 v29, a169                               // 000000006DE0: D3D8401D 180001A9
	v_mul_f32_e32 v29, v28, v29                                // 000000006DE8: 0A3A3B1C
	v_accvgpr_write_b32 a169, v29                              // 000000006DEC: D3D940A9 1800011D
	v_accvgpr_read_b32 v29, a170                               // 000000006DF4: D3D8401D 180001AA
	v_mul_f32_e32 v29, v28, v29                                // 000000006DFC: 0A3A3B1C
	v_accvgpr_write_b32 a170, v29                              // 000000006E00: D3D940AA 1800011D
	v_accvgpr_read_b32 v29, a171                               // 000000006E08: D3D8401D 180001AB
	v_mul_f32_e32 v29, v28, v29                                // 000000006E10: 0A3A3B1C
	v_accvgpr_write_b32 a171, v29                              // 000000006E14: D3D940AB 1800011D
	v_accvgpr_read_b32 v29, a172                               // 000000006E1C: D3D8401D 180001AC
	v_mul_f32_e32 v29, v28, v29                                // 000000006E24: 0A3A3B1C
	v_accvgpr_write_b32 a172, v29                              // 000000006E28: D3D940AC 1800011D
	v_accvgpr_read_b32 v29, a173                               // 000000006E30: D3D8401D 180001AD
	v_mul_f32_e32 v29, v28, v29                                // 000000006E38: 0A3A3B1C
	v_accvgpr_write_b32 a173, v29                              // 000000006E3C: D3D940AD 1800011D
	v_accvgpr_read_b32 v29, a174                               // 000000006E44: D3D8401D 180001AE
	v_mul_f32_e32 v29, v28, v29                                // 000000006E4C: 0A3A3B1C
	v_accvgpr_write_b32 a174, v29                              // 000000006E50: D3D940AE 1800011D
	v_accvgpr_read_b32 v29, a175                               // 000000006E58: D3D8401D 180001AF
	v_mul_f32_e32 v29, v28, v29                                // 000000006E60: 0A3A3B1C
	v_accvgpr_write_b32 a175, v29                              // 000000006E64: D3D940AF 1800011D
	v_accvgpr_read_b32 v29, a176                               // 000000006E6C: D3D8401D 180001B0
	v_mul_f32_e32 v29, v28, v29                                // 000000006E74: 0A3A3B1C
	v_accvgpr_write_b32 a176, v29                              // 000000006E78: D3D940B0 1800011D
	v_accvgpr_read_b32 v29, a177                               // 000000006E80: D3D8401D 180001B1
	v_mul_f32_e32 v29, v28, v29                                // 000000006E88: 0A3A3B1C
	v_accvgpr_write_b32 a177, v29                              // 000000006E8C: D3D940B1 1800011D
	v_accvgpr_read_b32 v29, a178                               // 000000006E94: D3D8401D 180001B2
	v_mul_f32_e32 v29, v28, v29                                // 000000006E9C: 0A3A3B1C
	v_accvgpr_write_b32 a178, v29                              // 000000006EA0: D3D940B2 1800011D
	v_accvgpr_read_b32 v29, a179                               // 000000006EA8: D3D8401D 180001B3
	v_mul_f32_e32 v29, v28, v29                                // 000000006EB0: 0A3A3B1C
	v_accvgpr_write_b32 a179, v29                              // 000000006EB4: D3D940B3 1800011D
	v_accvgpr_read_b32 v29, a180                               // 000000006EBC: D3D8401D 180001B4
	v_mul_f32_e32 v29, v28, v29                                // 000000006EC4: 0A3A3B1C
	v_accvgpr_write_b32 a180, v29                              // 000000006EC8: D3D940B4 1800011D
	v_accvgpr_read_b32 v29, a181                               // 000000006ED0: D3D8401D 180001B5
	v_mul_f32_e32 v29, v28, v29                                // 000000006ED8: 0A3A3B1C
	v_accvgpr_write_b32 a181, v29                              // 000000006EDC: D3D940B5 1800011D
	v_accvgpr_read_b32 v29, a182                               // 000000006EE4: D3D8401D 180001B6
	v_mul_f32_e32 v29, v28, v29                                // 000000006EEC: 0A3A3B1C
	v_accvgpr_write_b32 a182, v29                              // 000000006EF0: D3D940B6 1800011D
	v_accvgpr_read_b32 v29, a183                               // 000000006EF8: D3D8401D 180001B7
	v_mul_f32_e32 v29, v28, v29                                // 000000006F00: 0A3A3B1C
	v_accvgpr_write_b32 a183, v29                              // 000000006F04: D3D940B7 1800011D
	v_accvgpr_read_b32 v29, a184                               // 000000006F0C: D3D8401D 180001B8
	v_mul_f32_e32 v29, v28, v29                                // 000000006F14: 0A3A3B1C
	v_accvgpr_write_b32 a184, v29                              // 000000006F18: D3D940B8 1800011D
	v_accvgpr_read_b32 v29, a185                               // 000000006F20: D3D8401D 180001B9
	v_mul_f32_e32 v29, v28, v29                                // 000000006F28: 0A3A3B1C
	v_accvgpr_write_b32 a185, v29                              // 000000006F2C: D3D940B9 1800011D
	v_accvgpr_read_b32 v29, a186                               // 000000006F34: D3D8401D 180001BA
	v_mul_f32_e32 v29, v28, v29                                // 000000006F3C: 0A3A3B1C
	v_accvgpr_write_b32 a186, v29                              // 000000006F40: D3D940BA 1800011D
	v_accvgpr_read_b32 v29, a187                               // 000000006F48: D3D8401D 180001BB
	v_mul_f32_e32 v29, v28, v29                                // 000000006F50: 0A3A3B1C
	v_accvgpr_write_b32 a187, v29                              // 000000006F54: D3D940BB 1800011D
	v_accvgpr_read_b32 v29, a188                               // 000000006F5C: D3D8401D 180001BC
	v_mul_f32_e32 v29, v28, v29                                // 000000006F64: 0A3A3B1C
	v_accvgpr_write_b32 a188, v29                              // 000000006F68: D3D940BC 1800011D
	v_accvgpr_read_b32 v29, a189                               // 000000006F70: D3D8401D 180001BD
	v_mul_f32_e32 v29, v28, v29                                // 000000006F78: 0A3A3B1C
	v_accvgpr_write_b32 a189, v29                              // 000000006F7C: D3D940BD 1800011D
	v_accvgpr_read_b32 v29, a190                               // 000000006F84: D3D8401D 180001BE
	v_mul_f32_e32 v29, v28, v29                                // 000000006F8C: 0A3A3B1C
	v_accvgpr_write_b32 a190, v29                              // 000000006F90: D3D940BE 1800011D
	v_accvgpr_read_b32 v29, a191                               // 000000006F98: D3D8401D 180001BF
	v_mul_f32_e32 v29, v28, v29                                // 000000006FA0: 0A3A3B1C
	v_accvgpr_write_b32 a191, v29                              // 000000006FA4: D3D940BF 1800011D
	v_accvgpr_read_b32 v29, a192                               // 000000006FAC: D3D8401D 180001C0
	v_mul_f32_e32 v29, v28, v29                                // 000000006FB4: 0A3A3B1C
	v_accvgpr_write_b32 a192, v29                              // 000000006FB8: D3D940C0 1800011D
	v_accvgpr_read_b32 v29, a193                               // 000000006FC0: D3D8401D 180001C1
	v_mul_f32_e32 v29, v28, v29                                // 000000006FC8: 0A3A3B1C
	v_accvgpr_write_b32 a193, v29                              // 000000006FCC: D3D940C1 1800011D
	v_accvgpr_read_b32 v29, a194                               // 000000006FD4: D3D8401D 180001C2
	v_mul_f32_e32 v29, v28, v29                                // 000000006FDC: 0A3A3B1C
	v_accvgpr_write_b32 a194, v29                              // 000000006FE0: D3D940C2 1800011D
	v_accvgpr_read_b32 v29, a195                               // 000000006FE8: D3D8401D 180001C3
	v_mul_f32_e32 v29, v28, v29                                // 000000006FF0: 0A3A3B1C
	v_accvgpr_write_b32 a195, v29                              // 000000006FF4: D3D940C3 1800011D
	v_accvgpr_read_b32 v29, a196                               // 000000006FFC: D3D8401D 180001C4
	v_mul_f32_e32 v29, v28, v29                                // 000000007004: 0A3A3B1C
	v_accvgpr_write_b32 a196, v29                              // 000000007008: D3D940C4 1800011D
	v_accvgpr_read_b32 v29, a197                               // 000000007010: D3D8401D 180001C5
	v_mul_f32_e32 v29, v28, v29                                // 000000007018: 0A3A3B1C
	v_accvgpr_write_b32 a197, v29                              // 00000000701C: D3D940C5 1800011D
	v_accvgpr_read_b32 v29, a198                               // 000000007024: D3D8401D 180001C6
	v_mul_f32_e32 v29, v28, v29                                // 00000000702C: 0A3A3B1C
	v_accvgpr_write_b32 a198, v29                              // 000000007030: D3D940C6 1800011D
	v_accvgpr_read_b32 v29, a199                               // 000000007038: D3D8401D 180001C7
	v_mul_f32_e32 v29, v28, v29                                // 000000007040: 0A3A3B1C
	v_accvgpr_write_b32 a199, v29                              // 000000007044: D3D940C7 1800011D
	v_accvgpr_read_b32 v29, a200                               // 00000000704C: D3D8401D 180001C8
	v_mul_f32_e32 v29, v28, v29                                // 000000007054: 0A3A3B1C
	v_accvgpr_write_b32 a200, v29                              // 000000007058: D3D940C8 1800011D
	v_accvgpr_read_b32 v29, a201                               // 000000007060: D3D8401D 180001C9
	v_mul_f32_e32 v29, v28, v29                                // 000000007068: 0A3A3B1C
	v_accvgpr_write_b32 a201, v29                              // 00000000706C: D3D940C9 1800011D
	v_accvgpr_read_b32 v29, a202                               // 000000007074: D3D8401D 180001CA
	v_mul_f32_e32 v29, v28, v29                                // 00000000707C: 0A3A3B1C
	v_accvgpr_write_b32 a202, v29                              // 000000007080: D3D940CA 1800011D
	v_accvgpr_read_b32 v29, a203                               // 000000007088: D3D8401D 180001CB
	v_mul_f32_e32 v29, v28, v29                                // 000000007090: 0A3A3B1C
	v_accvgpr_write_b32 a203, v29                              // 000000007094: D3D940CB 1800011D
	v_accvgpr_read_b32 v29, a204                               // 00000000709C: D3D8401D 180001CC
	v_mul_f32_e32 v29, v28, v29                                // 0000000070A4: 0A3A3B1C
	v_accvgpr_write_b32 a204, v29                              // 0000000070A8: D3D940CC 1800011D
	v_accvgpr_read_b32 v29, a205                               // 0000000070B0: D3D8401D 180001CD
	v_mul_f32_e32 v29, v28, v29                                // 0000000070B8: 0A3A3B1C
	v_accvgpr_write_b32 a205, v29                              // 0000000070BC: D3D940CD 1800011D
	v_accvgpr_read_b32 v29, a206                               // 0000000070C4: D3D8401D 180001CE
	v_mul_f32_e32 v29, v28, v29                                // 0000000070CC: 0A3A3B1C
	v_accvgpr_write_b32 a206, v29                              // 0000000070D0: D3D940CE 1800011D
	v_accvgpr_read_b32 v29, a207                               // 0000000070D8: D3D8401D 180001CF
	v_mul_f32_e32 v29, v28, v29                                // 0000000070E0: 0A3A3B1C
	v_accvgpr_write_b32 a207, v29                              // 0000000070E4: D3D940CF 1800011D
	v_accvgpr_read_b32 v29, a208                               // 0000000070EC: D3D8401D 180001D0
	v_mul_f32_e32 v29, v28, v29                                // 0000000070F4: 0A3A3B1C
	v_accvgpr_write_b32 a208, v29                              // 0000000070F8: D3D940D0 1800011D
	v_accvgpr_read_b32 v29, a209                               // 000000007100: D3D8401D 180001D1
	v_mul_f32_e32 v29, v28, v29                                // 000000007108: 0A3A3B1C
	v_accvgpr_write_b32 a209, v29                              // 00000000710C: D3D940D1 1800011D
	v_accvgpr_read_b32 v29, a210                               // 000000007114: D3D8401D 180001D2
	v_mul_f32_e32 v29, v28, v29                                // 00000000711C: 0A3A3B1C
	v_accvgpr_write_b32 a210, v29                              // 000000007120: D3D940D2 1800011D
	v_accvgpr_read_b32 v29, a211                               // 000000007128: D3D8401D 180001D3
	v_mul_f32_e32 v29, v28, v29                                // 000000007130: 0A3A3B1C
	v_accvgpr_write_b32 a211, v29                              // 000000007134: D3D940D3 1800011D
	v_accvgpr_read_b32 v29, a212                               // 00000000713C: D3D8401D 180001D4
	v_mul_f32_e32 v29, v28, v29                                // 000000007144: 0A3A3B1C
	v_accvgpr_write_b32 a212, v29                              // 000000007148: D3D940D4 1800011D
	v_accvgpr_read_b32 v29, a213                               // 000000007150: D3D8401D 180001D5
	v_mul_f32_e32 v29, v28, v29                                // 000000007158: 0A3A3B1C
	v_accvgpr_write_b32 a213, v29                              // 00000000715C: D3D940D5 1800011D
	v_accvgpr_read_b32 v29, a214                               // 000000007164: D3D8401D 180001D6
	v_mul_f32_e32 v29, v28, v29                                // 00000000716C: 0A3A3B1C
	v_accvgpr_write_b32 a214, v29                              // 000000007170: D3D940D6 1800011D
	v_accvgpr_read_b32 v29, a215                               // 000000007178: D3D8401D 180001D7
	v_mul_f32_e32 v29, v28, v29                                // 000000007180: 0A3A3B1C
	v_accvgpr_write_b32 a215, v29                              // 000000007184: D3D940D7 1800011D
	v_accvgpr_read_b32 v29, a216                               // 00000000718C: D3D8401D 180001D8
	v_mul_f32_e32 v29, v28, v29                                // 000000007194: 0A3A3B1C
	v_accvgpr_write_b32 a216, v29                              // 000000007198: D3D940D8 1800011D
	v_accvgpr_read_b32 v29, a217                               // 0000000071A0: D3D8401D 180001D9
	v_mul_f32_e32 v29, v28, v29                                // 0000000071A8: 0A3A3B1C
	v_accvgpr_write_b32 a217, v29                              // 0000000071AC: D3D940D9 1800011D
	v_accvgpr_read_b32 v29, a218                               // 0000000071B4: D3D8401D 180001DA
	v_mul_f32_e32 v29, v28, v29                                // 0000000071BC: 0A3A3B1C
	v_accvgpr_write_b32 a218, v29                              // 0000000071C0: D3D940DA 1800011D
	v_accvgpr_read_b32 v29, a219                               // 0000000071C8: D3D8401D 180001DB
	v_mul_f32_e32 v29, v28, v29                                // 0000000071D0: 0A3A3B1C
	v_accvgpr_write_b32 a219, v29                              // 0000000071D4: D3D940DB 1800011D
	v_accvgpr_read_b32 v29, a220                               // 0000000071DC: D3D8401D 180001DC
	v_mul_f32_e32 v29, v28, v29                                // 0000000071E4: 0A3A3B1C
	v_accvgpr_write_b32 a220, v29                              // 0000000071E8: D3D940DC 1800011D
	v_accvgpr_read_b32 v29, a221                               // 0000000071F0: D3D8401D 180001DD
	v_mul_f32_e32 v29, v28, v29                                // 0000000071F8: 0A3A3B1C
	v_accvgpr_write_b32 a221, v29                              // 0000000071FC: D3D940DD 1800011D
	v_accvgpr_read_b32 v29, a222                               // 000000007204: D3D8401D 180001DE
	v_mul_f32_e32 v29, v28, v29                                // 00000000720C: 0A3A3B1C
	v_accvgpr_write_b32 a222, v29                              // 000000007210: D3D940DE 1800011D
	v_accvgpr_read_b32 v29, a223                               // 000000007218: D3D8401D 180001DF
	v_mul_f32_e32 v29, v28, v29                                // 000000007220: 0A3A3B1C
	v_accvgpr_write_b32 a223, v29                              // 000000007224: D3D940DF 1800011D
	v_accvgpr_read_b32 v29, a224                               // 00000000722C: D3D8401D 180001E0
	v_mul_f32_e32 v29, v28, v29                                // 000000007234: 0A3A3B1C
	v_accvgpr_write_b32 a224, v29                              // 000000007238: D3D940E0 1800011D
	v_accvgpr_read_b32 v29, a225                               // 000000007240: D3D8401D 180001E1
	v_mul_f32_e32 v29, v28, v29                                // 000000007248: 0A3A3B1C
	v_accvgpr_write_b32 a225, v29                              // 00000000724C: D3D940E1 1800011D
	v_accvgpr_read_b32 v29, a226                               // 000000007254: D3D8401D 180001E2
	v_mul_f32_e32 v29, v28, v29                                // 00000000725C: 0A3A3B1C
	v_accvgpr_write_b32 a226, v29                              // 000000007260: D3D940E2 1800011D
	v_accvgpr_read_b32 v29, a227                               // 000000007268: D3D8401D 180001E3
	v_mul_f32_e32 v29, v28, v29                                // 000000007270: 0A3A3B1C
	v_accvgpr_write_b32 a227, v29                              // 000000007274: D3D940E3 1800011D
	v_accvgpr_read_b32 v29, a228                               // 00000000727C: D3D8401D 180001E4
	v_mul_f32_e32 v29, v28, v29                                // 000000007284: 0A3A3B1C
	v_accvgpr_write_b32 a228, v29                              // 000000007288: D3D940E4 1800011D
	v_accvgpr_read_b32 v29, a229                               // 000000007290: D3D8401D 180001E5
	v_mul_f32_e32 v29, v28, v29                                // 000000007298: 0A3A3B1C
	v_accvgpr_write_b32 a229, v29                              // 00000000729C: D3D940E5 1800011D
	v_accvgpr_read_b32 v29, a230                               // 0000000072A4: D3D8401D 180001E6
	v_mul_f32_e32 v29, v28, v29                                // 0000000072AC: 0A3A3B1C
	v_accvgpr_write_b32 a230, v29                              // 0000000072B0: D3D940E6 1800011D
	v_accvgpr_read_b32 v29, a231                               // 0000000072B8: D3D8401D 180001E7
	v_mul_f32_e32 v29, v28, v29                                // 0000000072C0: 0A3A3B1C
	v_accvgpr_write_b32 a231, v29                              // 0000000072C4: D3D940E7 1800011D
	v_accvgpr_read_b32 v29, a232                               // 0000000072CC: D3D8401D 180001E8
	v_mul_f32_e32 v29, v28, v29                                // 0000000072D4: 0A3A3B1C
	v_accvgpr_write_b32 a232, v29                              // 0000000072D8: D3D940E8 1800011D
	v_accvgpr_read_b32 v29, a233                               // 0000000072E0: D3D8401D 180001E9
	v_mul_f32_e32 v29, v28, v29                                // 0000000072E8: 0A3A3B1C
	v_accvgpr_write_b32 a233, v29                              // 0000000072EC: D3D940E9 1800011D
	v_accvgpr_read_b32 v29, a234                               // 0000000072F4: D3D8401D 180001EA
	v_mul_f32_e32 v29, v28, v29                                // 0000000072FC: 0A3A3B1C
	v_accvgpr_write_b32 a234, v29                              // 000000007300: D3D940EA 1800011D
	v_accvgpr_read_b32 v29, a235                               // 000000007308: D3D8401D 180001EB
	v_mul_f32_e32 v29, v28, v29                                // 000000007310: 0A3A3B1C
	v_accvgpr_write_b32 a235, v29                              // 000000007314: D3D940EB 1800011D
	v_accvgpr_read_b32 v29, a236                               // 00000000731C: D3D8401D 180001EC
	v_mul_f32_e32 v29, v28, v29                                // 000000007324: 0A3A3B1C
	v_accvgpr_write_b32 a236, v29                              // 000000007328: D3D940EC 1800011D
	v_accvgpr_read_b32 v29, a237                               // 000000007330: D3D8401D 180001ED
	v_mul_f32_e32 v29, v28, v29                                // 000000007338: 0A3A3B1C
	v_accvgpr_write_b32 a237, v29                              // 00000000733C: D3D940ED 1800011D
	v_accvgpr_read_b32 v29, a238                               // 000000007344: D3D8401D 180001EE
	v_mul_f32_e32 v29, v28, v29                                // 00000000734C: 0A3A3B1C
	v_accvgpr_write_b32 a238, v29                              // 000000007350: D3D940EE 1800011D
	v_accvgpr_read_b32 v29, a239                               // 000000007358: D3D8401D 180001EF
	v_mul_f32_e32 v29, v28, v29                                // 000000007360: 0A3A3B1C
	v_accvgpr_write_b32 a239, v29                              // 000000007364: D3D940EF 1800011D
	s_waitcnt lgkmcnt(0)                                       // 00000000736C: BF8CC07F
	v_mfma_f32_32x32x64_f8f6f4 v[64:79], a[72:79], v[32:39], v[64:79]// 000000007370: D3AE0040 0D024148
	ds_read_b64_tr_b8 a[72:73], v5 offset:4096                 // 000000007378: DBC41000 48000005
	ds_read_b64_tr_b8 a[74:75], v6 offset:4096                 // 000000007380: DBC41000 4A000006
	ds_read_b64_tr_b8 a[76:77], v5 offset:22528                // 000000007388: DBC45800 4C000005
	ds_read_b64_tr_b8 a[78:79], v6 offset:22528                // 000000007390: DBC45800 4E000006
	v_mfma_f32_32x32x64_f8f6f4 v[80:95], a[80:87], v[32:39], v[80:95]// 000000007398: D3AE0050 0D424150
	ds_read_b64_tr_b8 a[80:81], v7 offset:4096                 // 0000000073A0: DBC41000 50000007
	ds_read_b64_tr_b8 a[82:83], v8 offset:4096                 // 0000000073A8: DBC41000 52000008
	ds_read_b64_tr_b8 a[84:85], v7 offset:22528                // 0000000073B0: DBC45800 54000007
	ds_read_b64_tr_b8 a[86:87], v8 offset:22528                // 0000000073B8: DBC45800 56000008
	v_mfma_f32_32x32x64_f8f6f4 v[96:111], a[88:95], v[32:39], v[96:111]// 0000000073C0: D3AE0060 0D824158
	ds_read_b64_tr_b8 a[88:89], v5 offset:5120                 // 0000000073C8: DBC41400 58000005
	ds_read_b64_tr_b8 a[90:91], v6 offset:5120                 // 0000000073D0: DBC41400 5A000006
	ds_read_b64_tr_b8 a[92:93], v5 offset:23552                // 0000000073D8: DBC45C00 5C000005
	ds_read_b64_tr_b8 a[94:95], v6 offset:23552                // 0000000073E0: DBC45C00 5E000006
	v_mfma_f32_32x32x64_f8f6f4 v[112:127], a[96:103], v[32:39], v[112:127]// 0000000073E8: D3AE0070 0DC24160
	ds_read_b64_tr_b8 a[96:97], v7 offset:5120                 // 0000000073F0: DBC41400 60000007
	ds_read_b64_tr_b8 a[98:99], v8 offset:5120                 // 0000000073F8: DBC41400 62000008
	ds_read_b64_tr_b8 a[100:101], v7 offset:23552              // 000000007400: DBC45C00 64000007
	ds_read_b64_tr_b8 a[102:103], v8 offset:23552              // 000000007408: DBC45C00 66000008
	v_mfma_f32_32x32x64_f8f6f4 v[128:143], a[104:111], v[32:39], v[128:143]// 000000007410: D3AE0080 0E024168
	ds_read_b64_tr_b8 a[104:105], v5 offset:6144               // 000000007418: DBC41800 68000005
	ds_read_b64_tr_b8 a[106:107], v6 offset:6144               // 000000007420: DBC41800 6A000006
	ds_read_b64_tr_b8 a[108:109], v5 offset:24576              // 000000007428: DBC46000 6C000005
	ds_read_b64_tr_b8 a[110:111], v6 offset:24576              // 000000007430: DBC46000 6E000006
	v_mfma_f32_32x32x64_f8f6f4 v[144:159], a[112:119], v[32:39], v[144:159]// 000000007438: D3AE0090 0E424170
	ds_read_b64_tr_b8 a[112:113], v7 offset:6144               // 000000007440: DBC41800 70000007
	ds_read_b64_tr_b8 a[114:115], v8 offset:6144               // 000000007448: DBC41800 72000008
	ds_read_b64_tr_b8 a[116:117], v7 offset:24576              // 000000007450: DBC46000 74000007
	ds_read_b64_tr_b8 a[118:119], v8 offset:24576              // 000000007458: DBC46000 76000008
	v_mfma_f32_32x32x64_f8f6f4 v[160:175], a[120:127], v[32:39], v[160:175]// 000000007460: D3AE00A0 0E824178
	ds_read_b64_tr_b8 a[120:121], v5 offset:7168               // 000000007468: DBC41C00 78000005
	ds_read_b64_tr_b8 a[122:123], v6 offset:7168               // 000000007470: DBC41C00 7A000006
	ds_read_b64_tr_b8 a[124:125], v5 offset:25600              // 000000007478: DBC46400 7C000005
	ds_read_b64_tr_b8 a[126:127], v6 offset:25600              // 000000007480: DBC46400 7E000006
	v_mfma_f32_32x32x64_f8f6f4 v[176:191], a[128:135], v[32:39], v[176:191]// 000000007488: D3AE00B0 0EC24180
	ds_read_b64_tr_b8 a[128:129], v7 offset:7168               // 000000007490: DBC41C00 80000007
	ds_read_b64_tr_b8 a[130:131], v8 offset:7168               // 000000007498: DBC41C00 82000008
	ds_read_b64_tr_b8 a[132:133], v7 offset:25600              // 0000000074A0: DBC46400 84000007
	ds_read_b64_tr_b8 a[134:135], v8 offset:25600              // 0000000074A8: DBC46400 86000008
	s_waitcnt lgkmcnt(0)                                       // 0000000074B0: BF8CC07F
	v_mfma_f32_32x32x64_f8f6f4 v[192:207], a[72:79], v[32:39], v[192:207]// 0000000074B4: D3AE00C0 0F024148
	v_mfma_f32_32x32x64_f8f6f4 v[208:223], a[80:87], v[32:39], v[208:223]// 0000000074BC: D3AE00D0 0F424150
	s_waitcnt vmcnt(10)                                        // 0000000074C4: BF8C0F7A
	s_barrier                                                  // 0000000074C8: BF8A0000
	ds_read_b128 a[72:75], v20                                 // 0000000074CC: DBFE0000 48000014
	ds_read_b128 a[76:79], v21                                 // 0000000074D4: DBFE0000 4C000015
	v_mfma_f32_32x32x64_f8f6f4 a[144:159], a[88:95], v[32:39], a[144:159]// 0000000074DC: D3AE8090 0E424158
	ds_read_b128 a[80:83], v20 offset:1024                     // 0000000074E4: DBFE0400 50000014
	ds_read_b128 a[84:87], v21 offset:1024                     // 0000000074EC: DBFE0400 54000015
	v_mfma_f32_32x32x64_f8f6f4 a[160:175], a[96:103], v[32:39], a[160:175]// 0000000074F4: D3AE80A0 0E824160
	ds_read_b128 a[88:91], v20 offset:2048                     // 0000000074FC: DBFE0800 58000014
	ds_read_b128 a[92:95], v21 offset:2048                     // 000000007504: DBFE0800 5C000015
	v_mfma_f32_32x32x64_f8f6f4 a[176:191], a[104:111], v[32:39], a[176:191]// 00000000750C: D3AE80B0 0EC24168
	ds_read_b128 a[96:99], v20 offset:3072                     // 000000007514: DBFE0C00 60000014
	ds_read_b128 a[100:103], v21 offset:3072                   // 00000000751C: DBFE0C00 64000015
	v_mfma_f32_32x32x64_f8f6f4 a[192:207], a[112:119], v[32:39], a[192:207]// 000000007524: D3AE80C0 0F024170
	ds_read_b128 a[104:107], v20 offset:4096                   // 00000000752C: DBFE1000 68000014
	ds_read_b128 a[108:111], v21 offset:4096                   // 000000007534: DBFE1000 6C000015
	v_mfma_f32_32x32x64_f8f6f4 a[208:223], a[120:127], v[32:39], a[208:223]// 00000000753C: D3AE80D0 0F424178
	ds_read_b128 a[112:115], v20 offset:5120                   // 000000007544: DBFE1400 70000014
	ds_read_b128 a[116:119], v21 offset:5120                   // 00000000754C: DBFE1400 74000015
	v_mfma_f32_32x32x64_f8f6f4 a[224:239], a[128:135], v[32:39], a[224:239]// 000000007554: D3AE80E0 0F824180
	ds_read_b128 a[120:123], v20 offset:6144                   // 00000000755C: DBFE1800 78000014
	ds_read_b128 a[124:127], v21 offset:6144                   // 000000007564: DBFE1800 7C000015
	ds_read_b128 a[128:131], v20 offset:7168                   // 00000000756C: DBFE1C00 80000014
	ds_read_b128 a[132:135], v21 offset:7168                   // 000000007574: DBFE1C00 84000015
	ds_read_b128 a[136:139], v20 offset:8192                   // 00000000757C: DBFE2000 88000014
	ds_read_b128 a[140:143], v21 offset:8192                   // 000000007584: DBFE2000 8C000015
	s_addk_i32 s70, 0x1                                        // 00000000758C: B7460001
	s_cmp_lt_i32 s70, s71                                      // 000000007590: BF044746
	s_cbranch_scc0 label_529C                                  // 000000007594: BF840001
	s_branch label_10F8                                        // 000000007598: BF82EF97

000000000000759c <label_529C>:
	s_nop 0                                                    // 00000000759C: BF800000
	s_nop 0                                                    // 0000000075A0: BF800000
	s_branch label_944C                                        // 0000000075A4: BF821069

00000000000075a8 <label_52A8>:
	s_waitcnt lgkmcnt(4)                                       // 0000000075A8: BF8CC47F
	v_mfma_f32_32x32x64_f8f6f4 v[32:47], a[72:79], a[0:7], 0   // 0000000075AC: D3AE0020 1A020148
	v_mul_u32_u24_e64 v31, v26, s68                            // 0000000075B4: D108001F 0000891A
	v_add_u32_e32 v31, v31, v1                                 // 0000000075BC: 683E031F
	buffer_load_dword v25, v27, s[24:27], 0 offen              // 0000000075C0: E0501000 8006191B
	v_mfma_f32_32x32x64_f8f6f4 v[32:47], a[80:87], a[8:15], v[32:47]// 0000000075C8: D3AE0020 1C821150
	s_mov_b32 s56, 0xb000                                      // 0000000075D0: BEB800FF 0000B000
	s_mul_i32 s57, s7, 0x2400                                  // 0000000075D8: 9239FF07 00002400
	s_add_u32 m0, s56, s57                                     // 0000000075E0: 807C3938
	buffer_load_dwordx4 v31, s[20:23], 0 offen lds             // 0000000075E4: E05D1000 8005001F
	s_add_i32 m0, m0, 0x3c0                                    // 0000000075EC: 817CFF7C 000003C0
	v_mfma_f32_32x32x64_f8f6f4 v[32:47], a[88:95], a[16:23], v[32:47]// 0000000075F4: D3AE0020 1C822158
	ds_read_b128 a[72:75], v20 offset:18432                    // 0000000075FC: DBFE4800 48000014
	ds_read_b128 a[76:79], v21 offset:18432                    // 000000007604: DBFE4800 4C000015
	v_mfma_f32_32x32x64_f8f6f4 v[32:47], a[96:103], a[24:31], v[32:47]// 00000000760C: D3AE0020 1C823160
	buffer_load_dwordx4 v31, s[20:23], 0 offen offset:64 lds   // 000000007614: E05D1040 8005001F
	s_add_i32 m0, m0, 0x3c0                                    // 00000000761C: 817CFF7C 000003C0
	ds_read_b128 a[80:83], v20 offset:19456                    // 000000007624: DBFE4C00 50000014
	ds_read_b128 a[84:87], v21 offset:19456                    // 00000000762C: DBFE4C00 54000015
	v_mfma_f32_32x32x64_f8f6f4 v[32:47], a[104:111], a[32:39], v[32:47]// 000000007634: D3AE0020 1C824168
	ds_read_b128 a[88:91], v20 offset:20480                    // 00000000763C: DBFE5000 58000014
	ds_read_b128 a[92:95], v21 offset:20480                    // 000000007644: DBFE5000 5C000015
	v_mfma_f32_32x32x64_f8f6f4 v[32:47], a[112:119], a[40:47], v[32:47]// 00000000764C: D3AE0020 1C825170
	buffer_load_dwordx4 v31, s[20:23], 0 offen offset:128 lds  // 000000007654: E05D1080 8005001F
	s_add_i32 m0, m0, 0x3c0                                    // 00000000765C: 817CFF7C 000003C0
	ds_read_b128 a[96:99], v20 offset:21504                    // 000000007664: DBFE5400 60000014
	ds_read_b128 a[100:103], v21 offset:21504                  // 00000000766C: DBFE5400 64000015
	v_mfma_f32_32x32x64_f8f6f4 v[32:47], a[120:127], a[48:55], v[32:47]// 000000007674: D3AE0020 1C826178
	ds_read_b128 a[104:107], v20 offset:22528                  // 00000000767C: DBFE5800 68000014
	ds_read_b128 a[108:111], v21 offset:22528                  // 000000007684: DBFE5800 6C000015
	v_mfma_f32_32x32x64_f8f6f4 v[32:47], a[128:135], a[56:63], v[32:47]// 00000000768C: D3AE0020 1C827180
	buffer_load_dwordx4 v31, s[20:23], 0 offen offset:192 lds  // 000000007694: E05D10C0 8005001F
	s_add_i32 m0, m0, 0x3c0                                    // 00000000769C: 817CFF7C 000003C0
	ds_read_b128 a[112:115], v20 offset:23552                  // 0000000076A4: DBFE5C00 70000014
	ds_read_b128 a[116:119], v21 offset:23552                  // 0000000076AC: DBFE5C00 74000015
	v_mfma_f32_32x32x64_f8f6f4 v[32:47], a[136:143], a[64:71], v[32:47]// 0000000076B4: D3AE0020 1C828188
	ds_read_b128 a[120:123], v20 offset:24576                  // 0000000076BC: DBFE6000 78000014
	ds_read_b128 a[124:127], v21 offset:24576                  // 0000000076C4: DBFE6000 7C000015
	buffer_load_dwordx4 v31, s[20:23], 0 offen offset:256 lds  // 0000000076CC: E05D1100 8005001F
	s_add_i32 m0, m0, 0x3c0                                    // 0000000076D4: 817CFF7C 000003C0
	buffer_load_dwordx4 v31, s[20:23], 0 offen offset:320 lds  // 0000000076DC: E05D1140 8005001F
	s_add_i32 m0, m0, 0x3c0                                    // 0000000076E4: 817CFF7C 000003C0
	buffer_load_dwordx4 v31, s[20:23], 0 offen offset:384 lds  // 0000000076EC: E05D1180 8005001F
	s_add_i32 m0, m0, 0x3c0                                    // 0000000076F4: 817CFF7C 000003C0
	buffer_load_dwordx4 v31, s[20:23], 0 offen offset:448 lds  // 0000000076FC: E05D11C0 8005001F
	s_add_i32 m0, m0, 0x3c0                                    // 000000007704: 817CFF7C 000003C0
	buffer_load_dwordx4 v31, s[20:23], 0 offen offset:512 lds  // 00000000770C: E05D1200 8005001F
	s_add_i32 m0, m0, 0x3c0                                    // 000000007714: 817CFF7C 000003C0
	ds_read_b128 a[128:131], v20 offset:25600                  // 00000000771C: DBFE6400 80000014
	ds_read_b128 a[132:135], v21 offset:25600                  // 000000007724: DBFE6400 84000015
	ds_read_b128 a[136:139], v20 offset:26624                  // 00000000772C: DBFE6800 88000014
	ds_read_b128 a[140:143], v21 offset:26624                  // 000000007734: DBFE6800 8C000015
	v_add_u32_e32 v27, s73, v27                                // 00000000773C: 68363649
	s_waitcnt lgkmcnt(4)                                       // 000000007740: BF8CC47F
	v_mfma_f32_32x32x64_f8f6f4 v[48:63], a[72:79], a[0:7], 0   // 000000007744: D3AE0030 1A020148
	v_mfma_f32_32x32x64_f8f6f4 v[48:63], a[80:87], a[8:15], v[48:63]// 00000000774C: D3AE0030 1CC21150
	v_mfma_f32_32x32x64_f8f6f4 v[48:63], a[88:95], a[16:23], v[48:63]// 000000007754: D3AE0030 1CC22158
	ds_read_b64_tr_b8 a[72:73], v9                             // 00000000775C: DBC40000 48000009
	ds_read_b64_tr_b8 a[74:75], v10                            // 000000007764: DBC40000 4A00000A
	ds_read_b64_tr_b8 a[76:77], v9 offset:18432                // 00000000776C: DBC44800 4C000009
	ds_read_b64_tr_b8 a[78:79], v10 offset:18432               // 000000007774: DBC44800 4E00000A
	v_mfma_f32_32x32x64_f8f6f4 v[48:63], a[96:103], a[24:31], v[48:63]// 00000000777C: D3AE0030 1CC23160
	ds_read_b64_tr_b8 a[80:81], v11                            // 000000007784: DBC40000 5000000B
	ds_read_b64_tr_b8 a[82:83], v12                            // 00000000778C: DBC40000 5200000C
	ds_read_b64_tr_b8 a[84:85], v11 offset:18432               // 000000007794: DBC44800 5400000B
	ds_read_b64_tr_b8 a[86:87], v12 offset:18432               // 00000000779C: DBC44800 5600000C
	v_mfma_f32_32x32x64_f8f6f4 v[48:63], a[104:111], a[32:39], v[48:63]// 0000000077A4: D3AE0030 1CC24168
	ds_read_b64_tr_b8 a[88:89], v9 offset:1024                 // 0000000077AC: DBC40400 58000009
	ds_read_b64_tr_b8 a[90:91], v10 offset:1024                // 0000000077B4: DBC40400 5A00000A
	ds_read_b64_tr_b8 a[92:93], v9 offset:19456                // 0000000077BC: DBC44C00 5C000009
	ds_read_b64_tr_b8 a[94:95], v10 offset:19456               // 0000000077C4: DBC44C00 5E00000A
	v_mfma_f32_32x32x64_f8f6f4 v[48:63], a[112:119], a[40:47], v[48:63]// 0000000077CC: D3AE0030 1CC25170
	ds_read_b64_tr_b8 a[96:97], v11 offset:1024                // 0000000077D4: DBC40400 6000000B
	ds_read_b64_tr_b8 a[98:99], v12 offset:1024                // 0000000077DC: DBC40400 6200000C
	ds_read_b64_tr_b8 a[100:101], v11 offset:19456             // 0000000077E4: DBC44C00 6400000B
	ds_read_b64_tr_b8 a[102:103], v12 offset:19456             // 0000000077EC: DBC44C00 6600000C
	v_mfma_f32_32x32x64_f8f6f4 v[48:63], a[120:127], a[48:55], v[48:63]// 0000000077F4: D3AE0030 1CC26178
	ds_read_b64_tr_b8 a[104:105], v9 offset:2048               // 0000000077FC: DBC40800 68000009
	ds_read_b64_tr_b8 a[106:107], v10 offset:2048              // 000000007804: DBC40800 6A00000A
	ds_read_b64_tr_b8 a[108:109], v9 offset:20480              // 00000000780C: DBC45000 6C000009
	ds_read_b64_tr_b8 a[110:111], v10 offset:20480             // 000000007814: DBC45000 6E00000A
	v_mfma_f32_32x32x64_f8f6f4 v[48:63], a[128:135], a[56:63], v[48:63]// 00000000781C: D3AE0030 1CC27180
	ds_read_b64_tr_b8 a[112:113], v11 offset:2048              // 000000007824: DBC40800 7000000B
	ds_read_b64_tr_b8 a[114:115], v12 offset:2048              // 00000000782C: DBC40800 7200000C
	ds_read_b64_tr_b8 a[116:117], v11 offset:20480             // 000000007834: DBC45000 7400000B
	ds_read_b64_tr_b8 a[118:119], v12 offset:20480             // 00000000783C: DBC45000 7600000C
	v_mfma_f32_32x32x64_f8f6f4 v[48:63], a[136:143], a[64:71], v[48:63]// 000000007844: D3AE0030 1CC28188
	ds_read_b64_tr_b8 a[120:121], v9 offset:3072               // 00000000784C: DBC40C00 78000009
	ds_read_b64_tr_b8 a[122:123], v10 offset:3072              // 000000007854: DBC40C00 7A00000A
	ds_read_b64_tr_b8 a[124:125], v9 offset:21504              // 00000000785C: DBC45400 7C000009
	ds_read_b64_tr_b8 a[126:127], v10 offset:21504             // 000000007864: DBC45400 7E00000A
	ds_read_b64_tr_b8 a[128:129], v11 offset:3072              // 00000000786C: DBC40C00 8000000B
	ds_read_b64_tr_b8 a[130:131], v12 offset:3072              // 000000007874: DBC40C00 8200000C
	ds_read_b64_tr_b8 a[132:133], v11 offset:21504             // 00000000787C: DBC45400 8400000B
	ds_read_b64_tr_b8 a[134:135], v12 offset:21504             // 000000007884: DBC45400 8600000C
	s_cmp_le_i32 s83, s82                                      // 00000000788C: BF055253
	s_cbranch_scc1 label_58E4                                  // 000000007890: BF8500D4
	v_mov_b32_e32 v28, s82                                     // 000000007894: 7E380252
	s_cmp_eq_i32 s81, 1                                        // 000000007898: BF008151
	s_cbranch_scc1 label_55C0                                  // 00000000789C: BF850008
	s_cmp_eq_i32 s81, 2                                        // 0000000078A0: BF008251
	s_cbranch_scc1 label_55B4                                  // 0000000078A4: BF850003
	v_add_i32 v28, s7, v28                                     // 0000000078A8: D29C001C 00023807
	s_branch label_55C0                                        // 0000000078B0: BF820003

00000000000078b4 <label_55B4>:
	s_lshr_b32 s56, s7, 1                                      // 0000000078B4: 8F388107
	v_add_u32_e32 v28, s56, v28                                // 0000000078B8: 68383838
	s_branch label_55C0                                        // 0000000078BC: BF820000

00000000000078c0 <label_55C0>:
	s_sub_u32 s56, s83, 63                                     // 0000000078C0: 80B8BF53
	v_lshrrev_b32_e32 v223, 5, v0                              // 0000000078C4: 21BE0085
	v_mul_i32_i24_e32 v223, 4, v223                            // 0000000078C8: 0DBFBE84
	v_add_u32_e32 v223, s56, v223                              // 0000000078CC: 69BFBE38
	v_add_u32_e32 v224, 1, v223                                // 0000000078D0: 69C1BE81
	v_add_u32_e32 v225, 2, v223                                // 0000000078D4: 69C3BE82
	v_add_u32_e32 v226, 3, v223                                // 0000000078D8: 69C5BE83
	v_mov_b32_e32 v31, 0xff800000                              // 0000000078DC: 7E3E02FF FF800000
	v_cmp_le_i32_e64 s[36:37], v223, v28                       // 0000000078E4: D0C30024 000239DF
	s_nop 0                                                    // 0000000078EC: BF800000
	v_cndmask_b32_e64 v32, v31, v32, s[36:37]                  // 0000000078F0: D1000020 0092411F
	v_add_u32_e32 v223, 8, v223                                // 0000000078F8: 69BFBE88
	v_cmp_le_i32_e64 s[36:37], v224, v28                       // 0000000078FC: D0C30024 000239E0
	s_nop 0                                                    // 000000007904: BF800000
	v_cndmask_b32_e64 v33, v31, v33, s[36:37]                  // 000000007908: D1000021 0092431F
	v_add_u32_e32 v224, 8, v224                                // 000000007910: 69C1C088
	v_cmp_le_i32_e64 s[36:37], v225, v28                       // 000000007914: D0C30024 000239E1
	s_nop 0                                                    // 00000000791C: BF800000
	v_cndmask_b32_e64 v34, v31, v34, s[36:37]                  // 000000007920: D1000022 0092451F
	v_add_u32_e32 v225, 8, v225                                // 000000007928: 69C3C288
	v_cmp_le_i32_e64 s[36:37], v226, v28                       // 00000000792C: D0C30024 000239E2
	s_nop 0                                                    // 000000007934: BF800000
	v_cndmask_b32_e64 v35, v31, v35, s[36:37]                  // 000000007938: D1000023 0092471F
	v_add_u32_e32 v226, 8, v226                                // 000000007940: 69C5C488
	v_cmp_le_i32_e64 s[36:37], v223, v28                       // 000000007944: D0C30024 000239DF
	s_nop 0                                                    // 00000000794C: BF800000
	v_cndmask_b32_e64 v36, v31, v36, s[36:37]                  // 000000007950: D1000024 0092491F
	v_add_u32_e32 v223, 8, v223                                // 000000007958: 69BFBE88
	v_cmp_le_i32_e64 s[36:37], v224, v28                       // 00000000795C: D0C30024 000239E0
	s_nop 0                                                    // 000000007964: BF800000
	v_cndmask_b32_e64 v37, v31, v37, s[36:37]                  // 000000007968: D1000025 00924B1F
	v_add_u32_e32 v224, 8, v224                                // 000000007970: 69C1C088
	v_cmp_le_i32_e64 s[36:37], v225, v28                       // 000000007974: D0C30024 000239E1
	s_nop 0                                                    // 00000000797C: BF800000
	v_cndmask_b32_e64 v38, v31, v38, s[36:37]                  // 000000007980: D1000026 00924D1F
	v_add_u32_e32 v225, 8, v225                                // 000000007988: 69C3C288
	v_cmp_le_i32_e64 s[36:37], v226, v28                       // 00000000798C: D0C30024 000239E2
	s_nop 0                                                    // 000000007994: BF800000
	v_cndmask_b32_e64 v39, v31, v39, s[36:37]                  // 000000007998: D1000027 00924F1F
	v_add_u32_e32 v226, 8, v226                                // 0000000079A0: 69C5C488
	v_cmp_le_i32_e64 s[36:37], v223, v28                       // 0000000079A4: D0C30024 000239DF
	s_nop 0                                                    // 0000000079AC: BF800000
	v_cndmask_b32_e64 v40, v31, v40, s[36:37]                  // 0000000079B0: D1000028 0092511F
	v_add_u32_e32 v223, 8, v223                                // 0000000079B8: 69BFBE88
	v_cmp_le_i32_e64 s[36:37], v224, v28                       // 0000000079BC: D0C30024 000239E0
	s_nop 0                                                    // 0000000079C4: BF800000
	v_cndmask_b32_e64 v41, v31, v41, s[36:37]                  // 0000000079C8: D1000029 0092531F
	v_add_u32_e32 v224, 8, v224                                // 0000000079D0: 69C1C088
	v_cmp_le_i32_e64 s[36:37], v225, v28                       // 0000000079D4: D0C30024 000239E1
	s_nop 0                                                    // 0000000079DC: BF800000
	v_cndmask_b32_e64 v42, v31, v42, s[36:37]                  // 0000000079E0: D100002A 0092551F
	v_add_u32_e32 v225, 8, v225                                // 0000000079E8: 69C3C288
	v_cmp_le_i32_e64 s[36:37], v226, v28                       // 0000000079EC: D0C30024 000239E2
	s_nop 0                                                    // 0000000079F4: BF800000
	v_cndmask_b32_e64 v43, v31, v43, s[36:37]                  // 0000000079F8: D100002B 0092571F
	v_add_u32_e32 v226, 8, v226                                // 000000007A00: 69C5C488
	v_cmp_le_i32_e64 s[36:37], v223, v28                       // 000000007A04: D0C30024 000239DF
	s_nop 0                                                    // 000000007A0C: BF800000
	v_cndmask_b32_e64 v44, v31, v44, s[36:37]                  // 000000007A10: D100002C 0092591F
	v_add_u32_e32 v223, 8, v223                                // 000000007A18: 69BFBE88
	v_cmp_le_i32_e64 s[36:37], v224, v28                       // 000000007A1C: D0C30024 000239E0
	s_nop 0                                                    // 000000007A24: BF800000
	v_cndmask_b32_e64 v45, v31, v45, s[36:37]                  // 000000007A28: D100002D 00925B1F
	v_add_u32_e32 v224, 8, v224                                // 000000007A30: 69C1C088
	v_cmp_le_i32_e64 s[36:37], v225, v28                       // 000000007A34: D0C30024 000239E1
	s_nop 0                                                    // 000000007A3C: BF800000
	v_cndmask_b32_e64 v46, v31, v46, s[36:37]                  // 000000007A40: D100002E 00925D1F
	v_add_u32_e32 v225, 8, v225                                // 000000007A48: 69C3C288
	v_cmp_le_i32_e64 s[36:37], v226, v28                       // 000000007A4C: D0C30024 000239E2
	s_nop 0                                                    // 000000007A54: BF800000
	v_cndmask_b32_e64 v47, v31, v47, s[36:37]                  // 000000007A58: D100002F 00925F1F
	v_add_u32_e32 v226, 8, v226                                // 000000007A60: 69C5C488
	v_cmp_le_i32_e64 s[36:37], v223, v28                       // 000000007A64: D0C30024 000239DF
	s_nop 0                                                    // 000000007A6C: BF800000
	v_cndmask_b32_e64 v48, v31, v48, s[36:37]                  // 000000007A70: D1000030 0092611F
	v_add_u32_e32 v223, 8, v223                                // 000000007A78: 69BFBE88
	v_cmp_le_i32_e64 s[36:37], v224, v28                       // 000000007A7C: D0C30024 000239E0
	s_nop 0                                                    // 000000007A84: BF800000
	v_cndmask_b32_e64 v49, v31, v49, s[36:37]                  // 000000007A88: D1000031 0092631F
	v_add_u32_e32 v224, 8, v224                                // 000000007A90: 69C1C088
	v_cmp_le_i32_e64 s[36:37], v225, v28                       // 000000007A94: D0C30024 000239E1
	s_nop 0                                                    // 000000007A9C: BF800000
	v_cndmask_b32_e64 v50, v31, v50, s[36:37]                  // 000000007AA0: D1000032 0092651F
	v_add_u32_e32 v225, 8, v225                                // 000000007AA8: 69C3C288
	v_cmp_le_i32_e64 s[36:37], v226, v28                       // 000000007AAC: D0C30024 000239E2
	s_nop 0                                                    // 000000007AB4: BF800000
	v_cndmask_b32_e64 v51, v31, v51, s[36:37]                  // 000000007AB8: D1000033 0092671F
	v_add_u32_e32 v226, 8, v226                                // 000000007AC0: 69C5C488
	v_cmp_le_i32_e64 s[36:37], v223, v28                       // 000000007AC4: D0C30024 000239DF
	s_nop 0                                                    // 000000007ACC: BF800000
	v_cndmask_b32_e64 v52, v31, v52, s[36:37]                  // 000000007AD0: D1000034 0092691F
	v_add_u32_e32 v223, 8, v223                                // 000000007AD8: 69BFBE88
	v_cmp_le_i32_e64 s[36:37], v224, v28                       // 000000007ADC: D0C30024 000239E0
	s_nop 0                                                    // 000000007AE4: BF800000
	v_cndmask_b32_e64 v53, v31, v53, s[36:37]                  // 000000007AE8: D1000035 00926B1F
	v_add_u32_e32 v224, 8, v224                                // 000000007AF0: 69C1C088
	v_cmp_le_i32_e64 s[36:37], v225, v28                       // 000000007AF4: D0C30024 000239E1
	s_nop 0                                                    // 000000007AFC: BF800000
	v_cndmask_b32_e64 v54, v31, v54, s[36:37]                  // 000000007B00: D1000036 00926D1F
	v_add_u32_e32 v225, 8, v225                                // 000000007B08: 69C3C288
	v_cmp_le_i32_e64 s[36:37], v226, v28                       // 000000007B0C: D0C30024 000239E2
	s_nop 0                                                    // 000000007B14: BF800000
	v_cndmask_b32_e64 v55, v31, v55, s[36:37]                  // 000000007B18: D1000037 00926F1F
	v_add_u32_e32 v226, 8, v226                                // 000000007B20: 69C5C488
	v_cmp_le_i32_e64 s[36:37], v223, v28                       // 000000007B24: D0C30024 000239DF
	s_nop 0                                                    // 000000007B2C: BF800000
	v_cndmask_b32_e64 v56, v31, v56, s[36:37]                  // 000000007B30: D1000038 0092711F
	v_add_u32_e32 v223, 8, v223                                // 000000007B38: 69BFBE88
	v_cmp_le_i32_e64 s[36:37], v224, v28                       // 000000007B3C: D0C30024 000239E0
	s_nop 0                                                    // 000000007B44: BF800000
	v_cndmask_b32_e64 v57, v31, v57, s[36:37]                  // 000000007B48: D1000039 0092731F
	v_add_u32_e32 v224, 8, v224                                // 000000007B50: 69C1C088
	v_cmp_le_i32_e64 s[36:37], v225, v28                       // 000000007B54: D0C30024 000239E1
	s_nop 0                                                    // 000000007B5C: BF800000
	v_cndmask_b32_e64 v58, v31, v58, s[36:37]                  // 000000007B60: D100003A 0092751F
	v_add_u32_e32 v225, 8, v225                                // 000000007B68: 69C3C288
	v_cmp_le_i32_e64 s[36:37], v226, v28                       // 000000007B6C: D0C30024 000239E2
	s_nop 0                                                    // 000000007B74: BF800000
	v_cndmask_b32_e64 v59, v31, v59, s[36:37]                  // 000000007B78: D100003B 0092771F
	v_add_u32_e32 v226, 8, v226                                // 000000007B80: 69C5C488
	v_cmp_le_i32_e64 s[36:37], v223, v28                       // 000000007B84: D0C30024 000239DF
	s_nop 0                                                    // 000000007B8C: BF800000
	v_cndmask_b32_e64 v60, v31, v60, s[36:37]                  // 000000007B90: D100003C 0092791F
	v_add_u32_e32 v223, 8, v223                                // 000000007B98: 69BFBE88
	v_cmp_le_i32_e64 s[36:37], v224, v28                       // 000000007B9C: D0C30024 000239E0
	s_nop 0                                                    // 000000007BA4: BF800000
	v_cndmask_b32_e64 v61, v31, v61, s[36:37]                  // 000000007BA8: D100003D 00927B1F
	v_add_u32_e32 v224, 8, v224                                // 000000007BB0: 69C1C088
	v_cmp_le_i32_e64 s[36:37], v225, v28                       // 000000007BB4: D0C30024 000239E1
	s_nop 0                                                    // 000000007BBC: BF800000
	v_cndmask_b32_e64 v62, v31, v62, s[36:37]                  // 000000007BC0: D100003E 00927D1F
	v_add_u32_e32 v225, 8, v225                                // 000000007BC8: 69C3C288
	v_cmp_le_i32_e64 s[36:37], v226, v28                       // 000000007BCC: D0C30024 000239E2
	s_nop 0                                                    // 000000007BD4: BF800000
	v_cndmask_b32_e64 v63, v31, v63, s[36:37]                  // 000000007BD8: D100003F 00927F1F
	v_add_u32_e32 v226, 8, v226                                // 000000007BE0: 69C5C488

0000000000007be4 <label_58E4>:
	s_add_u32 s83, s84, s83                                    // 000000007BE4: 80535354
	s_nop 2                                                    // 000000007BE8: BF800002
	v_mov_b32_e32 v29, v32                                     // 000000007BEC: 7E3A0320
	v_max3_f32 v29, v32, v33, v29                              // 000000007BF0: D1D3001D 04764320
	v_max3_f32 v29, v34, v35, v29                              // 000000007BF8: D1D3001D 04764722
	v_max3_f32 v29, v36, v37, v29                              // 000000007C00: D1D3001D 04764B24
	v_max3_f32 v29, v38, v39, v29                              // 000000007C08: D1D3001D 04764F26
	v_max3_f32 v29, v40, v41, v29                              // 000000007C10: D1D3001D 04765328
	v_max3_f32 v29, v42, v43, v29                              // 000000007C18: D1D3001D 0476572A
	v_max3_f32 v29, v44, v45, v29                              // 000000007C20: D1D3001D 04765B2C
	v_max3_f32 v29, v46, v47, v29                              // 000000007C28: D1D3001D 04765F2E
	v_max3_f32 v29, v48, v49, v29                              // 000000007C30: D1D3001D 04766330
	v_max3_f32 v29, v50, v51, v29                              // 000000007C38: D1D3001D 04766732
	v_max3_f32 v29, v52, v53, v29                              // 000000007C40: D1D3001D 04766B34
	v_max3_f32 v29, v54, v55, v29                              // 000000007C48: D1D3001D 04766F36
	v_max3_f32 v29, v56, v57, v29                              // 000000007C50: D1D3001D 04767338
	v_max3_f32 v29, v58, v59, v29                              // 000000007C58: D1D3001D 0476773A
	v_max3_f32 v29, v60, v61, v29                              // 000000007C60: D1D3001D 04767B3C
	v_max3_f32 v29, v62, v63, v29                              // 000000007C68: D1D3001D 04767F3E
	v_mov_b32_e32 v28, v29                                     // 000000007C70: 7E38031D
	v_mov_b32_e32 v29, v29                                     // 000000007C74: 7E3A031D
	s_nop 1                                                    // 000000007C78: BF800001
	v_permlane32_swap_b32_e32 v28, v29                         // 000000007C7C: 7E38B51D
	v_max3_f32 v29, v28, v29, v29                              // 000000007C80: D1D3001D 04763B1C
	v_mov_b32_e32 v28, 0xff800000                              // 000000007C88: 7E3802FF FF800000
	v_cmp_eq_u32_e64 s[36:37], v28, v2                         // 000000007C90: D0CA0024 0002051C
	v_max_f32_e32 v29, v29, v2                                 // 000000007C98: 163A051D
	v_sub_f32_e32 v17, v2, v29                                 // 000000007C9C: 04223B02
	v_cndmask_b32_e64 v17, v17, 0, s[36:37]                    // 000000007CA0: D1000011 00910111
	v_mov_b32_e32 v2, v29                                      // 000000007CA8: 7E04031D
	v_mul_f32_e32 v29, s5, v29                                 // 000000007CAC: 0A3A3A05
	v_mul_f32_e32 v17, s5, v17                                 // 000000007CB0: 0A222205
	v_exp_f32_e32 v17, v17                                     // 000000007CB4: 7E224111
	v_fma_f32 v32, v32, s5, -v29                               // 000000007CB8: D1CB0020 84740B20
	v_fma_f32 v33, v33, s5, -v29                               // 000000007CC0: D1CB0021 84740B21
	v_fma_f32 v34, v34, s5, -v29                               // 000000007CC8: D1CB0022 84740B22
	v_fma_f32 v35, v35, s5, -v29                               // 000000007CD0: D1CB0023 84740B23
	v_fma_f32 v36, v36, s5, -v29                               // 000000007CD8: D1CB0024 84740B24
	v_fma_f32 v37, v37, s5, -v29                               // 000000007CE0: D1CB0025 84740B25
	v_fma_f32 v38, v38, s5, -v29                               // 000000007CE8: D1CB0026 84740B26
	v_fma_f32 v39, v39, s5, -v29                               // 000000007CF0: D1CB0027 84740B27
	v_fma_f32 v40, v40, s5, -v29                               // 000000007CF8: D1CB0028 84740B28
	v_fma_f32 v41, v41, s5, -v29                               // 000000007D00: D1CB0029 84740B29
	v_fma_f32 v42, v42, s5, -v29                               // 000000007D08: D1CB002A 84740B2A
	v_fma_f32 v43, v43, s5, -v29                               // 000000007D10: D1CB002B 84740B2B
	v_fma_f32 v44, v44, s5, -v29                               // 000000007D18: D1CB002C 84740B2C
	v_fma_f32 v45, v45, s5, -v29                               // 000000007D20: D1CB002D 84740B2D
	v_fma_f32 v46, v46, s5, -v29                               // 000000007D28: D1CB002E 84740B2E
	v_fma_f32 v47, v47, s5, -v29                               // 000000007D30: D1CB002F 84740B2F
	v_fma_f32 v48, v48, s5, -v29                               // 000000007D38: D1CB0030 84740B30
	v_fma_f32 v49, v49, s5, -v29                               // 000000007D40: D1CB0031 84740B31
	v_fma_f32 v50, v50, s5, -v29                               // 000000007D48: D1CB0032 84740B32
	v_fma_f32 v51, v51, s5, -v29                               // 000000007D50: D1CB0033 84740B33
	v_fma_f32 v52, v52, s5, -v29                               // 000000007D58: D1CB0034 84740B34
	v_fma_f32 v53, v53, s5, -v29                               // 000000007D60: D1CB0035 84740B35
	v_fma_f32 v54, v54, s5, -v29                               // 000000007D68: D1CB0036 84740B36
	v_fma_f32 v55, v55, s5, -v29                               // 000000007D70: D1CB0037 84740B37
	v_fma_f32 v56, v56, s5, -v29                               // 000000007D78: D1CB0038 84740B38
	v_fma_f32 v57, v57, s5, -v29                               // 000000007D80: D1CB0039 84740B39
	v_fma_f32 v58, v58, s5, -v29                               // 000000007D88: D1CB003A 84740B3A
	v_fma_f32 v59, v59, s5, -v29                               // 000000007D90: D1CB003B 84740B3B
	v_fma_f32 v60, v60, s5, -v29                               // 000000007D98: D1CB003C 84740B3C
	v_fma_f32 v61, v61, s5, -v29                               // 000000007DA0: D1CB003D 84740B3D
	v_fma_f32 v62, v62, s5, -v29                               // 000000007DA8: D1CB003E 84740B3E
	v_fma_f32 v63, v63, s5, -v29                               // 000000007DB0: D1CB003F 84740B3F
	v_exp_f32_e32 v32, v32                                     // 000000007DB8: 7E404120
	v_exp_f32_e32 v33, v33                                     // 000000007DBC: 7E424121
	v_exp_f32_e32 v34, v34                                     // 000000007DC0: 7E444122
	v_exp_f32_e32 v35, v35                                     // 000000007DC4: 7E464123
	v_exp_f32_e32 v36, v36                                     // 000000007DC8: 7E484124
	v_exp_f32_e32 v37, v37                                     // 000000007DCC: 7E4A4125
	v_exp_f32_e32 v38, v38                                     // 000000007DD0: 7E4C4126
	v_exp_f32_e32 v39, v39                                     // 000000007DD4: 7E4E4127
	v_exp_f32_e32 v40, v40                                     // 000000007DD8: 7E504128
	v_exp_f32_e32 v41, v41                                     // 000000007DDC: 7E524129
	v_exp_f32_e32 v42, v42                                     // 000000007DE0: 7E54412A
	v_exp_f32_e32 v43, v43                                     // 000000007DE4: 7E56412B
	v_exp_f32_e32 v44, v44                                     // 000000007DE8: 7E58412C
	v_exp_f32_e32 v45, v45                                     // 000000007DEC: 7E5A412D
	v_exp_f32_e32 v46, v46                                     // 000000007DF0: 7E5C412E
	v_exp_f32_e32 v47, v47                                     // 000000007DF4: 7E5E412F
	v_exp_f32_e32 v48, v48                                     // 000000007DF8: 7E604130
	v_exp_f32_e32 v49, v49                                     // 000000007DFC: 7E624131
	v_exp_f32_e32 v50, v50                                     // 000000007E00: 7E644132
	v_exp_f32_e32 v51, v51                                     // 000000007E04: 7E664133
	v_exp_f32_e32 v52, v52                                     // 000000007E08: 7E684134
	v_exp_f32_e32 v53, v53                                     // 000000007E0C: 7E6A4135
	v_exp_f32_e32 v54, v54                                     // 000000007E10: 7E6C4136
	v_exp_f32_e32 v55, v55                                     // 000000007E14: 7E6E4137
	v_exp_f32_e32 v56, v56                                     // 000000007E18: 7E704138
	v_exp_f32_e32 v57, v57                                     // 000000007E1C: 7E724139
	v_exp_f32_e32 v58, v58                                     // 000000007E20: 7E74413A
	v_exp_f32_e32 v59, v59                                     // 000000007E24: 7E76413B
	v_exp_f32_e32 v60, v60                                     // 000000007E28: 7E78413C
	v_exp_f32_e32 v61, v61                                     // 000000007E2C: 7E7A413D
	v_exp_f32_e32 v62, v62                                     // 000000007E30: 7E7C413E
	v_exp_f32_e32 v63, v63                                     // 000000007E34: 7E7E413F
	v_mul_f32_e32 v4, v17, v4                                  // 000000007E38: 0A080911
	v_mov_b32_e32 v28, v32                                     // 000000007E3C: 7E380320
	v_add_f32_e32 v28, v33, v28                                // 000000007E40: 02383921
	v_add_f32_e32 v28, v34, v28                                // 000000007E44: 02383922
	v_add_f32_e32 v28, v35, v28                                // 000000007E48: 02383923
	v_add_f32_e32 v28, v36, v28                                // 000000007E4C: 02383924
	v_add_f32_e32 v28, v37, v28                                // 000000007E50: 02383925
	v_add_f32_e32 v28, v38, v28                                // 000000007E54: 02383926
	v_add_f32_e32 v28, v39, v28                                // 000000007E58: 02383927
	v_add_f32_e32 v28, v40, v28                                // 000000007E5C: 02383928
	v_add_f32_e32 v28, v41, v28                                // 000000007E60: 02383929
	v_add_f32_e32 v28, v42, v28                                // 000000007E64: 0238392A
	v_add_f32_e32 v28, v43, v28                                // 000000007E68: 0238392B
	v_add_f32_e32 v28, v44, v28                                // 000000007E6C: 0238392C
	v_add_f32_e32 v28, v45, v28                                // 000000007E70: 0238392D
	v_add_f32_e32 v28, v46, v28                                // 000000007E74: 0238392E
	v_add_f32_e32 v28, v47, v28                                // 000000007E78: 0238392F
	v_add_f32_e32 v28, v48, v28                                // 000000007E7C: 02383930
	v_add_f32_e32 v28, v49, v28                                // 000000007E80: 02383931
	v_add_f32_e32 v28, v50, v28                                // 000000007E84: 02383932
	v_add_f32_e32 v28, v51, v28                                // 000000007E88: 02383933
	v_add_f32_e32 v28, v52, v28                                // 000000007E8C: 02383934
	v_add_f32_e32 v28, v53, v28                                // 000000007E90: 02383935
	v_add_f32_e32 v28, v54, v28                                // 000000007E94: 02383936
	v_add_f32_e32 v28, v55, v28                                // 000000007E98: 02383937
	v_add_f32_e32 v28, v56, v28                                // 000000007E9C: 02383938
	v_add_f32_e32 v28, v57, v28                                // 000000007EA0: 02383939
	v_add_f32_e32 v28, v58, v28                                // 000000007EA4: 0238393A
	v_add_f32_e32 v28, v59, v28                                // 000000007EA8: 0238393B
	v_add_f32_e32 v28, v60, v28                                // 000000007EAC: 0238393C
	v_add_f32_e32 v28, v61, v28                                // 000000007EB0: 0238393D
	v_add_f32_e32 v28, v62, v28                                // 000000007EB4: 0238393E
	v_add_f32_e32 v28, v63, v28                                // 000000007EB8: 0238393F
	v_add_f32_e32 v4, v28, v4                                  // 000000007EBC: 0208091C
	v_cvt_pk_fp8_f32 v32, v32, v33                             // 000000007EC0: D2A20020 00024320
	v_cvt_pk_fp8_f32 v32, v34, v35 op_sel:[0,0,1]              // 000000007EC8: D2A24020 00024722
	v_cvt_pk_fp8_f32 v33, v36, v37                             // 000000007ED0: D2A20021 00024B24
	v_cvt_pk_fp8_f32 v33, v38, v39 op_sel:[0,0,1]              // 000000007ED8: D2A24021 00024F26
	v_cvt_pk_fp8_f32 v34, v40, v41                             // 000000007EE0: D2A20022 00025328
	v_cvt_pk_fp8_f32 v34, v42, v43 op_sel:[0,0,1]              // 000000007EE8: D2A24022 0002572A
	v_cvt_pk_fp8_f32 v35, v44, v45                             // 000000007EF0: D2A20023 00025B2C
	v_cvt_pk_fp8_f32 v35, v46, v47 op_sel:[0,0,1]              // 000000007EF8: D2A24023 00025F2E
	v_cvt_pk_fp8_f32 v36, v48, v49                             // 000000007F00: D2A20024 00026330
	v_cvt_pk_fp8_f32 v36, v50, v51 op_sel:[0,0,1]              // 000000007F08: D2A24024 00026732
	v_cvt_pk_fp8_f32 v37, v52, v53                             // 000000007F10: D2A20025 00026B34
	v_cvt_pk_fp8_f32 v37, v54, v55 op_sel:[0,0,1]              // 000000007F18: D2A24025 00026F36
	v_cvt_pk_fp8_f32 v38, v56, v57                             // 000000007F20: D2A20026 00027338
	v_cvt_pk_fp8_f32 v38, v58, v59 op_sel:[0,0,1]              // 000000007F28: D2A24026 0002773A
	v_cvt_pk_fp8_f32 v39, v60, v61                             // 000000007F30: D2A20027 00027B3C
	v_cvt_pk_fp8_f32 v39, v62, v63 op_sel:[0,0,1]              // 000000007F38: D2A24027 00027F3E
	v_permlane32_swap_b32_e32 v32, v34                         // 000000007F40: 7E40B522
	v_permlane32_swap_b32_e32 v33, v35                         // 000000007F44: 7E42B523
	v_swap_b32 v33, v34                                        // 000000007F48: 7E42A322
	v_permlane32_swap_b32_e32 v36, v38                         // 000000007F4C: 7E48B526
	v_permlane32_swap_b32_e32 v37, v39                         // 000000007F50: 7E4AB527
	v_swap_b32 v37, v38                                        // 000000007F54: 7E4AA326
	v_mov_b32_e32 v28, v17                                     // 000000007F58: 7E380311
	v_mul_f32_e32 v64, v28, v64                                // 000000007F5C: 0A80811C
	v_mul_f32_e32 v65, v28, v65                                // 000000007F60: 0A82831C
	v_mul_f32_e32 v66, v28, v66                                // 000000007F64: 0A84851C
	v_mul_f32_e32 v67, v28, v67                                // 000000007F68: 0A86871C
	v_mul_f32_e32 v68, v28, v68                                // 000000007F6C: 0A88891C
	v_mul_f32_e32 v69, v28, v69                                // 000000007F70: 0A8A8B1C
	v_mul_f32_e32 v70, v28, v70                                // 000000007F74: 0A8C8D1C
	v_mul_f32_e32 v71, v28, v71                                // 000000007F78: 0A8E8F1C
	v_mul_f32_e32 v72, v28, v72                                // 000000007F7C: 0A90911C
	v_mul_f32_e32 v73, v28, v73                                // 000000007F80: 0A92931C
	v_mul_f32_e32 v74, v28, v74                                // 000000007F84: 0A94951C
	v_mul_f32_e32 v75, v28, v75                                // 000000007F88: 0A96971C
	v_mul_f32_e32 v76, v28, v76                                // 000000007F8C: 0A98991C
	v_mul_f32_e32 v77, v28, v77                                // 000000007F90: 0A9A9B1C
	v_mul_f32_e32 v78, v28, v78                                // 000000007F94: 0A9C9D1C
	v_mul_f32_e32 v79, v28, v79                                // 000000007F98: 0A9E9F1C
	v_mul_f32_e32 v80, v28, v80                                // 000000007F9C: 0AA0A11C
	v_mul_f32_e32 v81, v28, v81                                // 000000007FA0: 0AA2A31C
	v_mul_f32_e32 v82, v28, v82                                // 000000007FA4: 0AA4A51C
	v_mul_f32_e32 v83, v28, v83                                // 000000007FA8: 0AA6A71C
	v_mul_f32_e32 v84, v28, v84                                // 000000007FAC: 0AA8A91C
	v_mul_f32_e32 v85, v28, v85                                // 000000007FB0: 0AAAAB1C
	v_mul_f32_e32 v86, v28, v86                                // 000000007FB4: 0AACAD1C
	v_mul_f32_e32 v87, v28, v87                                // 000000007FB8: 0AAEAF1C
	v_mul_f32_e32 v88, v28, v88                                // 000000007FBC: 0AB0B11C
	v_mul_f32_e32 v89, v28, v89                                // 000000007FC0: 0AB2B31C
	v_mul_f32_e32 v90, v28, v90                                // 000000007FC4: 0AB4B51C
	v_mul_f32_e32 v91, v28, v91                                // 000000007FC8: 0AB6B71C
	v_mul_f32_e32 v92, v28, v92                                // 000000007FCC: 0AB8B91C
	v_mul_f32_e32 v93, v28, v93                                // 000000007FD0: 0ABABB1C
	v_mul_f32_e32 v94, v28, v94                                // 000000007FD4: 0ABCBD1C
	v_mul_f32_e32 v95, v28, v95                                // 000000007FD8: 0ABEBF1C
	v_mul_f32_e32 v96, v28, v96                                // 000000007FDC: 0AC0C11C
	v_mul_f32_e32 v97, v28, v97                                // 000000007FE0: 0AC2C31C
	v_mul_f32_e32 v98, v28, v98                                // 000000007FE4: 0AC4C51C
	v_mul_f32_e32 v99, v28, v99                                // 000000007FE8: 0AC6C71C
	v_mul_f32_e32 v100, v28, v100                              // 000000007FEC: 0AC8C91C
	v_mul_f32_e32 v101, v28, v101                              // 000000007FF0: 0ACACB1C
	v_mul_f32_e32 v102, v28, v102                              // 000000007FF4: 0ACCCD1C
	v_mul_f32_e32 v103, v28, v103                              // 000000007FF8: 0ACECF1C
	v_mul_f32_e32 v104, v28, v104                              // 000000007FFC: 0AD0D11C
	v_mul_f32_e32 v105, v28, v105                              // 000000008000: 0AD2D31C
	v_mul_f32_e32 v106, v28, v106                              // 000000008004: 0AD4D51C
	v_mul_f32_e32 v107, v28, v107                              // 000000008008: 0AD6D71C
	v_mul_f32_e32 v108, v28, v108                              // 00000000800C: 0AD8D91C
	v_mul_f32_e32 v109, v28, v109                              // 000000008010: 0ADADB1C
	v_mul_f32_e32 v110, v28, v110                              // 000000008014: 0ADCDD1C
	v_mul_f32_e32 v111, v28, v111                              // 000000008018: 0ADEDF1C
	v_mul_f32_e32 v112, v28, v112                              // 00000000801C: 0AE0E11C
	v_mul_f32_e32 v113, v28, v113                              // 000000008020: 0AE2E31C
	v_mul_f32_e32 v114, v28, v114                              // 000000008024: 0AE4E51C
	v_mul_f32_e32 v115, v28, v115                              // 000000008028: 0AE6E71C
	v_mul_f32_e32 v116, v28, v116                              // 00000000802C: 0AE8E91C
	v_mul_f32_e32 v117, v28, v117                              // 000000008030: 0AEAEB1C
	v_mul_f32_e32 v118, v28, v118                              // 000000008034: 0AECED1C
	v_mul_f32_e32 v119, v28, v119                              // 000000008038: 0AEEEF1C
	v_mul_f32_e32 v120, v28, v120                              // 00000000803C: 0AF0F11C
	v_mul_f32_e32 v121, v28, v121                              // 000000008040: 0AF2F31C
	v_mul_f32_e32 v122, v28, v122                              // 000000008044: 0AF4F51C
	v_mul_f32_e32 v123, v28, v123                              // 000000008048: 0AF6F71C
	v_mul_f32_e32 v124, v28, v124                              // 00000000804C: 0AF8F91C
	v_mul_f32_e32 v125, v28, v125                              // 000000008050: 0AFAFB1C
	v_mul_f32_e32 v126, v28, v126                              // 000000008054: 0AFCFD1C
	v_mul_f32_e32 v127, v28, v127                              // 000000008058: 0AFEFF1C
	v_mul_f32_e32 v128, v28, v128                              // 00000000805C: 0B01011C
	v_mul_f32_e32 v129, v28, v129                              // 000000008060: 0B03031C
	v_mul_f32_e32 v130, v28, v130                              // 000000008064: 0B05051C
	v_mul_f32_e32 v131, v28, v131                              // 000000008068: 0B07071C
	v_mul_f32_e32 v132, v28, v132                              // 00000000806C: 0B09091C
	v_mul_f32_e32 v133, v28, v133                              // 000000008070: 0B0B0B1C
	v_mul_f32_e32 v134, v28, v134                              // 000000008074: 0B0D0D1C
	v_mul_f32_e32 v135, v28, v135                              // 000000008078: 0B0F0F1C
	v_mul_f32_e32 v136, v28, v136                              // 00000000807C: 0B11111C
	v_mul_f32_e32 v137, v28, v137                              // 000000008080: 0B13131C
	v_mul_f32_e32 v138, v28, v138                              // 000000008084: 0B15151C
	v_mul_f32_e32 v139, v28, v139                              // 000000008088: 0B17171C
	v_mul_f32_e32 v140, v28, v140                              // 00000000808C: 0B19191C
	v_mul_f32_e32 v141, v28, v141                              // 000000008090: 0B1B1B1C
	v_mul_f32_e32 v142, v28, v142                              // 000000008094: 0B1D1D1C
	v_mul_f32_e32 v143, v28, v143                              // 000000008098: 0B1F1F1C
	v_mul_f32_e32 v144, v28, v144                              // 00000000809C: 0B21211C
	v_mul_f32_e32 v145, v28, v145                              // 0000000080A0: 0B23231C
	v_mul_f32_e32 v146, v28, v146                              // 0000000080A4: 0B25251C
	v_mul_f32_e32 v147, v28, v147                              // 0000000080A8: 0B27271C
	v_mul_f32_e32 v148, v28, v148                              // 0000000080AC: 0B29291C
	v_mul_f32_e32 v149, v28, v149                              // 0000000080B0: 0B2B2B1C
	v_mul_f32_e32 v150, v28, v150                              // 0000000080B4: 0B2D2D1C
	v_mul_f32_e32 v151, v28, v151                              // 0000000080B8: 0B2F2F1C
	v_mul_f32_e32 v152, v28, v152                              // 0000000080BC: 0B31311C
	v_mul_f32_e32 v153, v28, v153                              // 0000000080C0: 0B33331C
	v_mul_f32_e32 v154, v28, v154                              // 0000000080C4: 0B35351C
	v_mul_f32_e32 v155, v28, v155                              // 0000000080C8: 0B37371C
	v_mul_f32_e32 v156, v28, v156                              // 0000000080CC: 0B39391C
	v_mul_f32_e32 v157, v28, v157                              // 0000000080D0: 0B3B3B1C
	v_mul_f32_e32 v158, v28, v158                              // 0000000080D4: 0B3D3D1C
	v_mul_f32_e32 v159, v28, v159                              // 0000000080D8: 0B3F3F1C
	v_mul_f32_e32 v160, v28, v160                              // 0000000080DC: 0B41411C
	v_mul_f32_e32 v161, v28, v161                              // 0000000080E0: 0B43431C
	v_mul_f32_e32 v162, v28, v162                              // 0000000080E4: 0B45451C
	v_mul_f32_e32 v163, v28, v163                              // 0000000080E8: 0B47471C
	v_mul_f32_e32 v164, v28, v164                              // 0000000080EC: 0B49491C
	v_mul_f32_e32 v165, v28, v165                              // 0000000080F0: 0B4B4B1C
	v_mul_f32_e32 v166, v28, v166                              // 0000000080F4: 0B4D4D1C
	v_mul_f32_e32 v167, v28, v167                              // 0000000080F8: 0B4F4F1C
	v_mul_f32_e32 v168, v28, v168                              // 0000000080FC: 0B51511C
	v_mul_f32_e32 v169, v28, v169                              // 000000008100: 0B53531C
	v_mul_f32_e32 v170, v28, v170                              // 000000008104: 0B55551C
	v_mul_f32_e32 v171, v28, v171                              // 000000008108: 0B57571C
	v_mul_f32_e32 v172, v28, v172                              // 00000000810C: 0B59591C
	v_mul_f32_e32 v173, v28, v173                              // 000000008110: 0B5B5B1C
	v_mul_f32_e32 v174, v28, v174                              // 000000008114: 0B5D5D1C
	v_mul_f32_e32 v175, v28, v175                              // 000000008118: 0B5F5F1C
	v_mul_f32_e32 v176, v28, v176                              // 00000000811C: 0B61611C
	v_mul_f32_e32 v177, v28, v177                              // 000000008120: 0B63631C
	v_mul_f32_e32 v178, v28, v178                              // 000000008124: 0B65651C
	v_mul_f32_e32 v179, v28, v179                              // 000000008128: 0B67671C
	v_mul_f32_e32 v180, v28, v180                              // 00000000812C: 0B69691C
	v_mul_f32_e32 v181, v28, v181                              // 000000008130: 0B6B6B1C
	v_mul_f32_e32 v182, v28, v182                              // 000000008134: 0B6D6D1C
	v_mul_f32_e32 v183, v28, v183                              // 000000008138: 0B6F6F1C
	v_mul_f32_e32 v184, v28, v184                              // 00000000813C: 0B71711C
	v_mul_f32_e32 v185, v28, v185                              // 000000008140: 0B73731C
	v_mul_f32_e32 v186, v28, v186                              // 000000008144: 0B75751C
	v_mul_f32_e32 v187, v28, v187                              // 000000008148: 0B77771C
	v_mul_f32_e32 v188, v28, v188                              // 00000000814C: 0B79791C
	v_mul_f32_e32 v189, v28, v189                              // 000000008150: 0B7B7B1C
	v_mul_f32_e32 v190, v28, v190                              // 000000008154: 0B7D7D1C
	v_mul_f32_e32 v191, v28, v191                              // 000000008158: 0B7F7F1C
	v_mul_f32_e32 v192, v28, v192                              // 00000000815C: 0B81811C
	v_mul_f32_e32 v193, v28, v193                              // 000000008160: 0B83831C
	v_mul_f32_e32 v194, v28, v194                              // 000000008164: 0B85851C
	v_mul_f32_e32 v195, v28, v195                              // 000000008168: 0B87871C
	v_mul_f32_e32 v196, v28, v196                              // 00000000816C: 0B89891C
	v_mul_f32_e32 v197, v28, v197                              // 000000008170: 0B8B8B1C
	v_mul_f32_e32 v198, v28, v198                              // 000000008174: 0B8D8D1C
	v_mul_f32_e32 v199, v28, v199                              // 000000008178: 0B8F8F1C
	v_mul_f32_e32 v200, v28, v200                              // 00000000817C: 0B91911C
	v_mul_f32_e32 v201, v28, v201                              // 000000008180: 0B93931C
	v_mul_f32_e32 v202, v28, v202                              // 000000008184: 0B95951C
	v_mul_f32_e32 v203, v28, v203                              // 000000008188: 0B97971C
	v_mul_f32_e32 v204, v28, v204                              // 00000000818C: 0B99991C
	v_mul_f32_e32 v205, v28, v205                              // 000000008190: 0B9B9B1C
	v_mul_f32_e32 v206, v28, v206                              // 000000008194: 0B9D9D1C
	v_mul_f32_e32 v207, v28, v207                              // 000000008198: 0B9F9F1C
	v_mul_f32_e32 v208, v28, v208                              // 00000000819C: 0BA1A11C
	v_mul_f32_e32 v209, v28, v209                              // 0000000081A0: 0BA3A31C
	v_mul_f32_e32 v210, v28, v210                              // 0000000081A4: 0BA5A51C
	v_mul_f32_e32 v211, v28, v211                              // 0000000081A8: 0BA7A71C
	v_mul_f32_e32 v212, v28, v212                              // 0000000081AC: 0BA9A91C
	v_mul_f32_e32 v213, v28, v213                              // 0000000081B0: 0BABAB1C
	v_mul_f32_e32 v214, v28, v214                              // 0000000081B4: 0BADAD1C
	v_mul_f32_e32 v215, v28, v215                              // 0000000081B8: 0BAFAF1C
	v_mul_f32_e32 v216, v28, v216                              // 0000000081BC: 0BB1B11C
	v_mul_f32_e32 v217, v28, v217                              // 0000000081C0: 0BB3B31C
	v_mul_f32_e32 v218, v28, v218                              // 0000000081C4: 0BB5B51C
	v_mul_f32_e32 v219, v28, v219                              // 0000000081C8: 0BB7B71C
	v_mul_f32_e32 v220, v28, v220                              // 0000000081CC: 0BB9B91C
	v_mul_f32_e32 v221, v28, v221                              // 0000000081D0: 0BBBBB1C
	v_mul_f32_e32 v222, v28, v222                              // 0000000081D4: 0BBDBD1C
	v_mul_f32_e32 v223, v28, v223                              // 0000000081D8: 0BBFBF1C
	v_accvgpr_read_b32 v29, a144                               // 0000000081DC: D3D8401D 18000190
	v_mul_f32_e32 v29, v28, v29                                // 0000000081E4: 0A3A3B1C
	v_accvgpr_write_b32 a144, v29                              // 0000000081E8: D3D94090 1800011D
	v_accvgpr_read_b32 v29, a145                               // 0000000081F0: D3D8401D 18000191
	v_mul_f32_e32 v29, v28, v29                                // 0000000081F8: 0A3A3B1C
	v_accvgpr_write_b32 a145, v29                              // 0000000081FC: D3D94091 1800011D
	v_accvgpr_read_b32 v29, a146                               // 000000008204: D3D8401D 18000192
	v_mul_f32_e32 v29, v28, v29                                // 00000000820C: 0A3A3B1C
	v_accvgpr_write_b32 a146, v29                              // 000000008210: D3D94092 1800011D
	v_accvgpr_read_b32 v29, a147                               // 000000008218: D3D8401D 18000193
	v_mul_f32_e32 v29, v28, v29                                // 000000008220: 0A3A3B1C
	v_accvgpr_write_b32 a147, v29                              // 000000008224: D3D94093 1800011D
	v_accvgpr_read_b32 v29, a148                               // 00000000822C: D3D8401D 18000194
	v_mul_f32_e32 v29, v28, v29                                // 000000008234: 0A3A3B1C
	v_accvgpr_write_b32 a148, v29                              // 000000008238: D3D94094 1800011D
	v_accvgpr_read_b32 v29, a149                               // 000000008240: D3D8401D 18000195
	v_mul_f32_e32 v29, v28, v29                                // 000000008248: 0A3A3B1C
	v_accvgpr_write_b32 a149, v29                              // 00000000824C: D3D94095 1800011D
	v_accvgpr_read_b32 v29, a150                               // 000000008254: D3D8401D 18000196
	v_mul_f32_e32 v29, v28, v29                                // 00000000825C: 0A3A3B1C
	v_accvgpr_write_b32 a150, v29                              // 000000008260: D3D94096 1800011D
	v_accvgpr_read_b32 v29, a151                               // 000000008268: D3D8401D 18000197
	v_mul_f32_e32 v29, v28, v29                                // 000000008270: 0A3A3B1C
	v_accvgpr_write_b32 a151, v29                              // 000000008274: D3D94097 1800011D
	v_accvgpr_read_b32 v29, a152                               // 00000000827C: D3D8401D 18000198
	v_mul_f32_e32 v29, v28, v29                                // 000000008284: 0A3A3B1C
	v_accvgpr_write_b32 a152, v29                              // 000000008288: D3D94098 1800011D
	v_accvgpr_read_b32 v29, a153                               // 000000008290: D3D8401D 18000199
	v_mul_f32_e32 v29, v28, v29                                // 000000008298: 0A3A3B1C
	v_accvgpr_write_b32 a153, v29                              // 00000000829C: D3D94099 1800011D
	v_accvgpr_read_b32 v29, a154                               // 0000000082A4: D3D8401D 1800019A
	v_mul_f32_e32 v29, v28, v29                                // 0000000082AC: 0A3A3B1C
	v_accvgpr_write_b32 a154, v29                              // 0000000082B0: D3D9409A 1800011D
	v_accvgpr_read_b32 v29, a155                               // 0000000082B8: D3D8401D 1800019B
	v_mul_f32_e32 v29, v28, v29                                // 0000000082C0: 0A3A3B1C
	v_accvgpr_write_b32 a155, v29                              // 0000000082C4: D3D9409B 1800011D
	v_accvgpr_read_b32 v29, a156                               // 0000000082CC: D3D8401D 1800019C
	v_mul_f32_e32 v29, v28, v29                                // 0000000082D4: 0A3A3B1C
	v_accvgpr_write_b32 a156, v29                              // 0000000082D8: D3D9409C 1800011D
	v_accvgpr_read_b32 v29, a157                               // 0000000082E0: D3D8401D 1800019D
	v_mul_f32_e32 v29, v28, v29                                // 0000000082E8: 0A3A3B1C
	v_accvgpr_write_b32 a157, v29                              // 0000000082EC: D3D9409D 1800011D
	v_accvgpr_read_b32 v29, a158                               // 0000000082F4: D3D8401D 1800019E
	v_mul_f32_e32 v29, v28, v29                                // 0000000082FC: 0A3A3B1C
	v_accvgpr_write_b32 a158, v29                              // 000000008300: D3D9409E 1800011D
	v_accvgpr_read_b32 v29, a159                               // 000000008308: D3D8401D 1800019F
	v_mul_f32_e32 v29, v28, v29                                // 000000008310: 0A3A3B1C
	v_accvgpr_write_b32 a159, v29                              // 000000008314: D3D9409F 1800011D
	v_accvgpr_read_b32 v29, a160                               // 00000000831C: D3D8401D 180001A0
	v_mul_f32_e32 v29, v28, v29                                // 000000008324: 0A3A3B1C
	v_accvgpr_write_b32 a160, v29                              // 000000008328: D3D940A0 1800011D
	v_accvgpr_read_b32 v29, a161                               // 000000008330: D3D8401D 180001A1
	v_mul_f32_e32 v29, v28, v29                                // 000000008338: 0A3A3B1C
	v_accvgpr_write_b32 a161, v29                              // 00000000833C: D3D940A1 1800011D
	v_accvgpr_read_b32 v29, a162                               // 000000008344: D3D8401D 180001A2
	v_mul_f32_e32 v29, v28, v29                                // 00000000834C: 0A3A3B1C
	v_accvgpr_write_b32 a162, v29                              // 000000008350: D3D940A2 1800011D
	v_accvgpr_read_b32 v29, a163                               // 000000008358: D3D8401D 180001A3
	v_mul_f32_e32 v29, v28, v29                                // 000000008360: 0A3A3B1C
	v_accvgpr_write_b32 a163, v29                              // 000000008364: D3D940A3 1800011D
	v_accvgpr_read_b32 v29, a164                               // 00000000836C: D3D8401D 180001A4
	v_mul_f32_e32 v29, v28, v29                                // 000000008374: 0A3A3B1C
	v_accvgpr_write_b32 a164, v29                              // 000000008378: D3D940A4 1800011D
	v_accvgpr_read_b32 v29, a165                               // 000000008380: D3D8401D 180001A5
	v_mul_f32_e32 v29, v28, v29                                // 000000008388: 0A3A3B1C
	v_accvgpr_write_b32 a165, v29                              // 00000000838C: D3D940A5 1800011D
	v_accvgpr_read_b32 v29, a166                               // 000000008394: D3D8401D 180001A6
	v_mul_f32_e32 v29, v28, v29                                // 00000000839C: 0A3A3B1C
	v_accvgpr_write_b32 a166, v29                              // 0000000083A0: D3D940A6 1800011D
	v_accvgpr_read_b32 v29, a167                               // 0000000083A8: D3D8401D 180001A7
	v_mul_f32_e32 v29, v28, v29                                // 0000000083B0: 0A3A3B1C
	v_accvgpr_write_b32 a167, v29                              // 0000000083B4: D3D940A7 1800011D
	v_accvgpr_read_b32 v29, a168                               // 0000000083BC: D3D8401D 180001A8
	v_mul_f32_e32 v29, v28, v29                                // 0000000083C4: 0A3A3B1C
	v_accvgpr_write_b32 a168, v29                              // 0000000083C8: D3D940A8 1800011D
	v_accvgpr_read_b32 v29, a169                               // 0000000083D0: D3D8401D 180001A9
	v_mul_f32_e32 v29, v28, v29                                // 0000000083D8: 0A3A3B1C
	v_accvgpr_write_b32 a169, v29                              // 0000000083DC: D3D940A9 1800011D
	v_accvgpr_read_b32 v29, a170                               // 0000000083E4: D3D8401D 180001AA
	v_mul_f32_e32 v29, v28, v29                                // 0000000083EC: 0A3A3B1C
	v_accvgpr_write_b32 a170, v29                              // 0000000083F0: D3D940AA 1800011D
	v_accvgpr_read_b32 v29, a171                               // 0000000083F8: D3D8401D 180001AB
	v_mul_f32_e32 v29, v28, v29                                // 000000008400: 0A3A3B1C
	v_accvgpr_write_b32 a171, v29                              // 000000008404: D3D940AB 1800011D
	v_accvgpr_read_b32 v29, a172                               // 00000000840C: D3D8401D 180001AC
	v_mul_f32_e32 v29, v28, v29                                // 000000008414: 0A3A3B1C
	v_accvgpr_write_b32 a172, v29                              // 000000008418: D3D940AC 1800011D
	v_accvgpr_read_b32 v29, a173                               // 000000008420: D3D8401D 180001AD
	v_mul_f32_e32 v29, v28, v29                                // 000000008428: 0A3A3B1C
	v_accvgpr_write_b32 a173, v29                              // 00000000842C: D3D940AD 1800011D
	v_accvgpr_read_b32 v29, a174                               // 000000008434: D3D8401D 180001AE
	v_mul_f32_e32 v29, v28, v29                                // 00000000843C: 0A3A3B1C
	v_accvgpr_write_b32 a174, v29                              // 000000008440: D3D940AE 1800011D
	v_accvgpr_read_b32 v29, a175                               // 000000008448: D3D8401D 180001AF
	v_mul_f32_e32 v29, v28, v29                                // 000000008450: 0A3A3B1C
	v_accvgpr_write_b32 a175, v29                              // 000000008454: D3D940AF 1800011D
	v_accvgpr_read_b32 v29, a176                               // 00000000845C: D3D8401D 180001B0
	v_mul_f32_e32 v29, v28, v29                                // 000000008464: 0A3A3B1C
	v_accvgpr_write_b32 a176, v29                              // 000000008468: D3D940B0 1800011D
	v_accvgpr_read_b32 v29, a177                               // 000000008470: D3D8401D 180001B1
	v_mul_f32_e32 v29, v28, v29                                // 000000008478: 0A3A3B1C
	v_accvgpr_write_b32 a177, v29                              // 00000000847C: D3D940B1 1800011D
	v_accvgpr_read_b32 v29, a178                               // 000000008484: D3D8401D 180001B2
	v_mul_f32_e32 v29, v28, v29                                // 00000000848C: 0A3A3B1C
	v_accvgpr_write_b32 a178, v29                              // 000000008490: D3D940B2 1800011D
	v_accvgpr_read_b32 v29, a179                               // 000000008498: D3D8401D 180001B3
	v_mul_f32_e32 v29, v28, v29                                // 0000000084A0: 0A3A3B1C
	v_accvgpr_write_b32 a179, v29                              // 0000000084A4: D3D940B3 1800011D
	v_accvgpr_read_b32 v29, a180                               // 0000000084AC: D3D8401D 180001B4
	v_mul_f32_e32 v29, v28, v29                                // 0000000084B4: 0A3A3B1C
	v_accvgpr_write_b32 a180, v29                              // 0000000084B8: D3D940B4 1800011D
	v_accvgpr_read_b32 v29, a181                               // 0000000084C0: D3D8401D 180001B5
	v_mul_f32_e32 v29, v28, v29                                // 0000000084C8: 0A3A3B1C
	v_accvgpr_write_b32 a181, v29                              // 0000000084CC: D3D940B5 1800011D
	v_accvgpr_read_b32 v29, a182                               // 0000000084D4: D3D8401D 180001B6
	v_mul_f32_e32 v29, v28, v29                                // 0000000084DC: 0A3A3B1C
	v_accvgpr_write_b32 a182, v29                              // 0000000084E0: D3D940B6 1800011D
	v_accvgpr_read_b32 v29, a183                               // 0000000084E8: D3D8401D 180001B7
	v_mul_f32_e32 v29, v28, v29                                // 0000000084F0: 0A3A3B1C
	v_accvgpr_write_b32 a183, v29                              // 0000000084F4: D3D940B7 1800011D
	v_accvgpr_read_b32 v29, a184                               // 0000000084FC: D3D8401D 180001B8
	v_mul_f32_e32 v29, v28, v29                                // 000000008504: 0A3A3B1C
	v_accvgpr_write_b32 a184, v29                              // 000000008508: D3D940B8 1800011D
	v_accvgpr_read_b32 v29, a185                               // 000000008510: D3D8401D 180001B9
	v_mul_f32_e32 v29, v28, v29                                // 000000008518: 0A3A3B1C
	v_accvgpr_write_b32 a185, v29                              // 00000000851C: D3D940B9 1800011D
	v_accvgpr_read_b32 v29, a186                               // 000000008524: D3D8401D 180001BA
	v_mul_f32_e32 v29, v28, v29                                // 00000000852C: 0A3A3B1C
	v_accvgpr_write_b32 a186, v29                              // 000000008530: D3D940BA 1800011D
	v_accvgpr_read_b32 v29, a187                               // 000000008538: D3D8401D 180001BB
	v_mul_f32_e32 v29, v28, v29                                // 000000008540: 0A3A3B1C
	v_accvgpr_write_b32 a187, v29                              // 000000008544: D3D940BB 1800011D
	v_accvgpr_read_b32 v29, a188                               // 00000000854C: D3D8401D 180001BC
	v_mul_f32_e32 v29, v28, v29                                // 000000008554: 0A3A3B1C
	v_accvgpr_write_b32 a188, v29                              // 000000008558: D3D940BC 1800011D
	v_accvgpr_read_b32 v29, a189                               // 000000008560: D3D8401D 180001BD
	v_mul_f32_e32 v29, v28, v29                                // 000000008568: 0A3A3B1C
	v_accvgpr_write_b32 a189, v29                              // 00000000856C: D3D940BD 1800011D
	v_accvgpr_read_b32 v29, a190                               // 000000008574: D3D8401D 180001BE
	v_mul_f32_e32 v29, v28, v29                                // 00000000857C: 0A3A3B1C
	v_accvgpr_write_b32 a190, v29                              // 000000008580: D3D940BE 1800011D
	v_accvgpr_read_b32 v29, a191                               // 000000008588: D3D8401D 180001BF
	v_mul_f32_e32 v29, v28, v29                                // 000000008590: 0A3A3B1C
	v_accvgpr_write_b32 a191, v29                              // 000000008594: D3D940BF 1800011D
	v_accvgpr_read_b32 v29, a192                               // 00000000859C: D3D8401D 180001C0
	v_mul_f32_e32 v29, v28, v29                                // 0000000085A4: 0A3A3B1C
	v_accvgpr_write_b32 a192, v29                              // 0000000085A8: D3D940C0 1800011D
	v_accvgpr_read_b32 v29, a193                               // 0000000085B0: D3D8401D 180001C1
	v_mul_f32_e32 v29, v28, v29                                // 0000000085B8: 0A3A3B1C
	v_accvgpr_write_b32 a193, v29                              // 0000000085BC: D3D940C1 1800011D
	v_accvgpr_read_b32 v29, a194                               // 0000000085C4: D3D8401D 180001C2
	v_mul_f32_e32 v29, v28, v29                                // 0000000085CC: 0A3A3B1C
	v_accvgpr_write_b32 a194, v29                              // 0000000085D0: D3D940C2 1800011D
	v_accvgpr_read_b32 v29, a195                               // 0000000085D8: D3D8401D 180001C3
	v_mul_f32_e32 v29, v28, v29                                // 0000000085E0: 0A3A3B1C
	v_accvgpr_write_b32 a195, v29                              // 0000000085E4: D3D940C3 1800011D
	v_accvgpr_read_b32 v29, a196                               // 0000000085EC: D3D8401D 180001C4
	v_mul_f32_e32 v29, v28, v29                                // 0000000085F4: 0A3A3B1C
	v_accvgpr_write_b32 a196, v29                              // 0000000085F8: D3D940C4 1800011D
	v_accvgpr_read_b32 v29, a197                               // 000000008600: D3D8401D 180001C5
	v_mul_f32_e32 v29, v28, v29                                // 000000008608: 0A3A3B1C
	v_accvgpr_write_b32 a197, v29                              // 00000000860C: D3D940C5 1800011D
	v_accvgpr_read_b32 v29, a198                               // 000000008614: D3D8401D 180001C6
	v_mul_f32_e32 v29, v28, v29                                // 00000000861C: 0A3A3B1C
	v_accvgpr_write_b32 a198, v29                              // 000000008620: D3D940C6 1800011D
	v_accvgpr_read_b32 v29, a199                               // 000000008628: D3D8401D 180001C7
	v_mul_f32_e32 v29, v28, v29                                // 000000008630: 0A3A3B1C
	v_accvgpr_write_b32 a199, v29                              // 000000008634: D3D940C7 1800011D
	v_accvgpr_read_b32 v29, a200                               // 00000000863C: D3D8401D 180001C8
	v_mul_f32_e32 v29, v28, v29                                // 000000008644: 0A3A3B1C
	v_accvgpr_write_b32 a200, v29                              // 000000008648: D3D940C8 1800011D
	v_accvgpr_read_b32 v29, a201                               // 000000008650: D3D8401D 180001C9
	v_mul_f32_e32 v29, v28, v29                                // 000000008658: 0A3A3B1C
	v_accvgpr_write_b32 a201, v29                              // 00000000865C: D3D940C9 1800011D
	v_accvgpr_read_b32 v29, a202                               // 000000008664: D3D8401D 180001CA
	v_mul_f32_e32 v29, v28, v29                                // 00000000866C: 0A3A3B1C
	v_accvgpr_write_b32 a202, v29                              // 000000008670: D3D940CA 1800011D
	v_accvgpr_read_b32 v29, a203                               // 000000008678: D3D8401D 180001CB
	v_mul_f32_e32 v29, v28, v29                                // 000000008680: 0A3A3B1C
	v_accvgpr_write_b32 a203, v29                              // 000000008684: D3D940CB 1800011D
	v_accvgpr_read_b32 v29, a204                               // 00000000868C: D3D8401D 180001CC
	v_mul_f32_e32 v29, v28, v29                                // 000000008694: 0A3A3B1C
	v_accvgpr_write_b32 a204, v29                              // 000000008698: D3D940CC 1800011D
	v_accvgpr_read_b32 v29, a205                               // 0000000086A0: D3D8401D 180001CD
	v_mul_f32_e32 v29, v28, v29                                // 0000000086A8: 0A3A3B1C
	v_accvgpr_write_b32 a205, v29                              // 0000000086AC: D3D940CD 1800011D
	v_accvgpr_read_b32 v29, a206                               // 0000000086B4: D3D8401D 180001CE
	v_mul_f32_e32 v29, v28, v29                                // 0000000086BC: 0A3A3B1C
	v_accvgpr_write_b32 a206, v29                              // 0000000086C0: D3D940CE 1800011D
	v_accvgpr_read_b32 v29, a207                               // 0000000086C8: D3D8401D 180001CF
	v_mul_f32_e32 v29, v28, v29                                // 0000000086D0: 0A3A3B1C
	v_accvgpr_write_b32 a207, v29                              // 0000000086D4: D3D940CF 1800011D
	v_accvgpr_read_b32 v29, a208                               // 0000000086DC: D3D8401D 180001D0
	v_mul_f32_e32 v29, v28, v29                                // 0000000086E4: 0A3A3B1C
	v_accvgpr_write_b32 a208, v29                              // 0000000086E8: D3D940D0 1800011D
	v_accvgpr_read_b32 v29, a209                               // 0000000086F0: D3D8401D 180001D1
	v_mul_f32_e32 v29, v28, v29                                // 0000000086F8: 0A3A3B1C
	v_accvgpr_write_b32 a209, v29                              // 0000000086FC: D3D940D1 1800011D
	v_accvgpr_read_b32 v29, a210                               // 000000008704: D3D8401D 180001D2
	v_mul_f32_e32 v29, v28, v29                                // 00000000870C: 0A3A3B1C
	v_accvgpr_write_b32 a210, v29                              // 000000008710: D3D940D2 1800011D
	v_accvgpr_read_b32 v29, a211                               // 000000008718: D3D8401D 180001D3
	v_mul_f32_e32 v29, v28, v29                                // 000000008720: 0A3A3B1C
	v_accvgpr_write_b32 a211, v29                              // 000000008724: D3D940D3 1800011D
	v_accvgpr_read_b32 v29, a212                               // 00000000872C: D3D8401D 180001D4
	v_mul_f32_e32 v29, v28, v29                                // 000000008734: 0A3A3B1C
	v_accvgpr_write_b32 a212, v29                              // 000000008738: D3D940D4 1800011D
	v_accvgpr_read_b32 v29, a213                               // 000000008740: D3D8401D 180001D5
	v_mul_f32_e32 v29, v28, v29                                // 000000008748: 0A3A3B1C
	v_accvgpr_write_b32 a213, v29                              // 00000000874C: D3D940D5 1800011D
	v_accvgpr_read_b32 v29, a214                               // 000000008754: D3D8401D 180001D6
	v_mul_f32_e32 v29, v28, v29                                // 00000000875C: 0A3A3B1C
	v_accvgpr_write_b32 a214, v29                              // 000000008760: D3D940D6 1800011D
	v_accvgpr_read_b32 v29, a215                               // 000000008768: D3D8401D 180001D7
	v_mul_f32_e32 v29, v28, v29                                // 000000008770: 0A3A3B1C
	v_accvgpr_write_b32 a215, v29                              // 000000008774: D3D940D7 1800011D
	v_accvgpr_read_b32 v29, a216                               // 00000000877C: D3D8401D 180001D8
	v_mul_f32_e32 v29, v28, v29                                // 000000008784: 0A3A3B1C
	v_accvgpr_write_b32 a216, v29                              // 000000008788: D3D940D8 1800011D
	v_accvgpr_read_b32 v29, a217                               // 000000008790: D3D8401D 180001D9
	v_mul_f32_e32 v29, v28, v29                                // 000000008798: 0A3A3B1C
	v_accvgpr_write_b32 a217, v29                              // 00000000879C: D3D940D9 1800011D
	v_accvgpr_read_b32 v29, a218                               // 0000000087A4: D3D8401D 180001DA
	v_mul_f32_e32 v29, v28, v29                                // 0000000087AC: 0A3A3B1C
	v_accvgpr_write_b32 a218, v29                              // 0000000087B0: D3D940DA 1800011D
	v_accvgpr_read_b32 v29, a219                               // 0000000087B8: D3D8401D 180001DB
	v_mul_f32_e32 v29, v28, v29                                // 0000000087C0: 0A3A3B1C
	v_accvgpr_write_b32 a219, v29                              // 0000000087C4: D3D940DB 1800011D
	v_accvgpr_read_b32 v29, a220                               // 0000000087CC: D3D8401D 180001DC
	v_mul_f32_e32 v29, v28, v29                                // 0000000087D4: 0A3A3B1C
	v_accvgpr_write_b32 a220, v29                              // 0000000087D8: D3D940DC 1800011D
	v_accvgpr_read_b32 v29, a221                               // 0000000087E0: D3D8401D 180001DD
	v_mul_f32_e32 v29, v28, v29                                // 0000000087E8: 0A3A3B1C
	v_accvgpr_write_b32 a221, v29                              // 0000000087EC: D3D940DD 1800011D
	v_accvgpr_read_b32 v29, a222                               // 0000000087F4: D3D8401D 180001DE
	v_mul_f32_e32 v29, v28, v29                                // 0000000087FC: 0A3A3B1C
	v_accvgpr_write_b32 a222, v29                              // 000000008800: D3D940DE 1800011D
	v_accvgpr_read_b32 v29, a223                               // 000000008808: D3D8401D 180001DF
	v_mul_f32_e32 v29, v28, v29                                // 000000008810: 0A3A3B1C
	v_accvgpr_write_b32 a223, v29                              // 000000008814: D3D940DF 1800011D
	v_accvgpr_read_b32 v29, a224                               // 00000000881C: D3D8401D 180001E0
	v_mul_f32_e32 v29, v28, v29                                // 000000008824: 0A3A3B1C
	v_accvgpr_write_b32 a224, v29                              // 000000008828: D3D940E0 1800011D
	v_accvgpr_read_b32 v29, a225                               // 000000008830: D3D8401D 180001E1
	v_mul_f32_e32 v29, v28, v29                                // 000000008838: 0A3A3B1C
	v_accvgpr_write_b32 a225, v29                              // 00000000883C: D3D940E1 1800011D
	v_accvgpr_read_b32 v29, a226                               // 000000008844: D3D8401D 180001E2
	v_mul_f32_e32 v29, v28, v29                                // 00000000884C: 0A3A3B1C
	v_accvgpr_write_b32 a226, v29                              // 000000008850: D3D940E2 1800011D
	v_accvgpr_read_b32 v29, a227                               // 000000008858: D3D8401D 180001E3
	v_mul_f32_e32 v29, v28, v29                                // 000000008860: 0A3A3B1C
	v_accvgpr_write_b32 a227, v29                              // 000000008864: D3D940E3 1800011D
	v_accvgpr_read_b32 v29, a228                               // 00000000886C: D3D8401D 180001E4
	v_mul_f32_e32 v29, v28, v29                                // 000000008874: 0A3A3B1C
	v_accvgpr_write_b32 a228, v29                              // 000000008878: D3D940E4 1800011D
	v_accvgpr_read_b32 v29, a229                               // 000000008880: D3D8401D 180001E5
	v_mul_f32_e32 v29, v28, v29                                // 000000008888: 0A3A3B1C
	v_accvgpr_write_b32 a229, v29                              // 00000000888C: D3D940E5 1800011D
	v_accvgpr_read_b32 v29, a230                               // 000000008894: D3D8401D 180001E6
	v_mul_f32_e32 v29, v28, v29                                // 00000000889C: 0A3A3B1C
	v_accvgpr_write_b32 a230, v29                              // 0000000088A0: D3D940E6 1800011D
	v_accvgpr_read_b32 v29, a231                               // 0000000088A8: D3D8401D 180001E7
	v_mul_f32_e32 v29, v28, v29                                // 0000000088B0: 0A3A3B1C
	v_accvgpr_write_b32 a231, v29                              // 0000000088B4: D3D940E7 1800011D
	v_accvgpr_read_b32 v29, a232                               // 0000000088BC: D3D8401D 180001E8
	v_mul_f32_e32 v29, v28, v29                                // 0000000088C4: 0A3A3B1C
	v_accvgpr_write_b32 a232, v29                              // 0000000088C8: D3D940E8 1800011D
	v_accvgpr_read_b32 v29, a233                               // 0000000088D0: D3D8401D 180001E9
	v_mul_f32_e32 v29, v28, v29                                // 0000000088D8: 0A3A3B1C
	v_accvgpr_write_b32 a233, v29                              // 0000000088DC: D3D940E9 1800011D
	v_accvgpr_read_b32 v29, a234                               // 0000000088E4: D3D8401D 180001EA
	v_mul_f32_e32 v29, v28, v29                                // 0000000088EC: 0A3A3B1C
	v_accvgpr_write_b32 a234, v29                              // 0000000088F0: D3D940EA 1800011D
	v_accvgpr_read_b32 v29, a235                               // 0000000088F8: D3D8401D 180001EB
	v_mul_f32_e32 v29, v28, v29                                // 000000008900: 0A3A3B1C
	v_accvgpr_write_b32 a235, v29                              // 000000008904: D3D940EB 1800011D
	v_accvgpr_read_b32 v29, a236                               // 00000000890C: D3D8401D 180001EC
	v_mul_f32_e32 v29, v28, v29                                // 000000008914: 0A3A3B1C
	v_accvgpr_write_b32 a236, v29                              // 000000008918: D3D940EC 1800011D
	v_accvgpr_read_b32 v29, a237                               // 000000008920: D3D8401D 180001ED
	v_mul_f32_e32 v29, v28, v29                                // 000000008928: 0A3A3B1C
	v_accvgpr_write_b32 a237, v29                              // 00000000892C: D3D940ED 1800011D
	v_accvgpr_read_b32 v29, a238                               // 000000008934: D3D8401D 180001EE
	v_mul_f32_e32 v29, v28, v29                                // 00000000893C: 0A3A3B1C
	v_accvgpr_write_b32 a238, v29                              // 000000008940: D3D940EE 1800011D
	v_accvgpr_read_b32 v29, a239                               // 000000008948: D3D8401D 180001EF
	v_mul_f32_e32 v29, v28, v29                                // 000000008950: 0A3A3B1C
	v_accvgpr_write_b32 a239, v29                              // 000000008954: D3D940EF 1800011D
	s_waitcnt lgkmcnt(0)                                       // 00000000895C: BF8CC07F
	v_mfma_f32_32x32x64_f8f6f4 v[64:79], a[72:79], v[32:39], v[64:79]// 000000008960: D3AE0040 0D024148
	ds_read_b64_tr_b8 a[72:73], v9 offset:4096                 // 000000008968: DBC41000 48000009
	ds_read_b64_tr_b8 a[74:75], v10 offset:4096                // 000000008970: DBC41000 4A00000A
	ds_read_b64_tr_b8 a[76:77], v9 offset:22528                // 000000008978: DBC45800 4C000009
	ds_read_b64_tr_b8 a[78:79], v10 offset:22528               // 000000008980: DBC45800 4E00000A
	v_mfma_f32_32x32x64_f8f6f4 v[80:95], a[80:87], v[32:39], v[80:95]// 000000008988: D3AE0050 0D424150
	ds_read_b64_tr_b8 a[80:81], v11 offset:4096                // 000000008990: DBC41000 5000000B
	ds_read_b64_tr_b8 a[82:83], v12 offset:4096                // 000000008998: DBC41000 5200000C
	ds_read_b64_tr_b8 a[84:85], v11 offset:22528               // 0000000089A0: DBC45800 5400000B
	ds_read_b64_tr_b8 a[86:87], v12 offset:22528               // 0000000089A8: DBC45800 5600000C
	v_mfma_f32_32x32x64_f8f6f4 v[96:111], a[88:95], v[32:39], v[96:111]// 0000000089B0: D3AE0060 0D824158
	ds_read_b64_tr_b8 a[88:89], v9 offset:5120                 // 0000000089B8: DBC41400 58000009
	ds_read_b64_tr_b8 a[90:91], v10 offset:5120                // 0000000089C0: DBC41400 5A00000A
	ds_read_b64_tr_b8 a[92:93], v9 offset:23552                // 0000000089C8: DBC45C00 5C000009
	ds_read_b64_tr_b8 a[94:95], v10 offset:23552               // 0000000089D0: DBC45C00 5E00000A
	v_mfma_f32_32x32x64_f8f6f4 v[112:127], a[96:103], v[32:39], v[112:127]// 0000000089D8: D3AE0070 0DC24160
	ds_read_b64_tr_b8 a[96:97], v11 offset:5120                // 0000000089E0: DBC41400 6000000B
	ds_read_b64_tr_b8 a[98:99], v12 offset:5120                // 0000000089E8: DBC41400 6200000C
	ds_read_b64_tr_b8 a[100:101], v11 offset:23552             // 0000000089F0: DBC45C00 6400000B
	ds_read_b64_tr_b8 a[102:103], v12 offset:23552             // 0000000089F8: DBC45C00 6600000C
	v_mfma_f32_32x32x64_f8f6f4 v[128:143], a[104:111], v[32:39], v[128:143]// 000000008A00: D3AE0080 0E024168
	ds_read_b64_tr_b8 a[104:105], v9 offset:6144               // 000000008A08: DBC41800 68000009
	ds_read_b64_tr_b8 a[106:107], v10 offset:6144              // 000000008A10: DBC41800 6A00000A
	ds_read_b64_tr_b8 a[108:109], v9 offset:24576              // 000000008A18: DBC46000 6C000009
	ds_read_b64_tr_b8 a[110:111], v10 offset:24576             // 000000008A20: DBC46000 6E00000A
	v_mfma_f32_32x32x64_f8f6f4 v[144:159], a[112:119], v[32:39], v[144:159]// 000000008A28: D3AE0090 0E424170
	ds_read_b64_tr_b8 a[112:113], v11 offset:6144              // 000000008A30: DBC41800 7000000B
	ds_read_b64_tr_b8 a[114:115], v12 offset:6144              // 000000008A38: DBC41800 7200000C
	ds_read_b64_tr_b8 a[116:117], v11 offset:24576             // 000000008A40: DBC46000 7400000B
	ds_read_b64_tr_b8 a[118:119], v12 offset:24576             // 000000008A48: DBC46000 7600000C
	v_mfma_f32_32x32x64_f8f6f4 v[160:175], a[120:127], v[32:39], v[160:175]// 000000008A50: D3AE00A0 0E824178
	ds_read_b64_tr_b8 a[120:121], v9 offset:7168               // 000000008A58: DBC41C00 78000009
	ds_read_b64_tr_b8 a[122:123], v10 offset:7168              // 000000008A60: DBC41C00 7A00000A
	ds_read_b64_tr_b8 a[124:125], v9 offset:25600              // 000000008A68: DBC46400 7C000009
	ds_read_b64_tr_b8 a[126:127], v10 offset:25600             // 000000008A70: DBC46400 7E00000A
	v_mfma_f32_32x32x64_f8f6f4 v[176:191], a[128:135], v[32:39], v[176:191]// 000000008A78: D3AE00B0 0EC24180
	ds_read_b64_tr_b8 a[128:129], v11 offset:7168              // 000000008A80: DBC41C00 8000000B
	ds_read_b64_tr_b8 a[130:131], v12 offset:7168              // 000000008A88: DBC41C00 8200000C
	ds_read_b64_tr_b8 a[132:133], v11 offset:25600             // 000000008A90: DBC46400 8400000B
	ds_read_b64_tr_b8 a[134:135], v12 offset:25600             // 000000008A98: DBC46400 8600000C
	s_waitcnt lgkmcnt(0)                                       // 000000008AA0: BF8CC07F
	v_mfma_f32_32x32x64_f8f6f4 v[192:207], a[72:79], v[32:39], v[192:207]// 000000008AA4: D3AE00C0 0F024148
	v_mfma_f32_32x32x64_f8f6f4 v[208:223], a[80:87], v[32:39], v[208:223]// 000000008AAC: D3AE00D0 0F424150
	s_waitcnt vmcnt(10)                                        // 000000008AB4: BF8C0F7A
	s_barrier                                                  // 000000008AB8: BF8A0000
	ds_read_b128 a[72:75], v22                                 // 000000008ABC: DBFE0000 48000016
	ds_read_b128 a[76:79], v23                                 // 000000008AC4: DBFE0000 4C000017
	v_mfma_f32_32x32x64_f8f6f4 a[144:159], a[88:95], v[32:39], a[144:159]// 000000008ACC: D3AE8090 0E424158
	ds_read_b128 a[80:83], v22 offset:1024                     // 000000008AD4: DBFE0400 50000016
	ds_read_b128 a[84:87], v23 offset:1024                     // 000000008ADC: DBFE0400 54000017
	v_mfma_f32_32x32x64_f8f6f4 a[160:175], a[96:103], v[32:39], a[160:175]// 000000008AE4: D3AE80A0 0E824160
	ds_read_b128 a[88:91], v22 offset:2048                     // 000000008AEC: DBFE0800 58000016
	ds_read_b128 a[92:95], v23 offset:2048                     // 000000008AF4: DBFE0800 5C000017
	v_mfma_f32_32x32x64_f8f6f4 a[176:191], a[104:111], v[32:39], a[176:191]// 000000008AFC: D3AE80B0 0EC24168
	ds_read_b128 a[96:99], v22 offset:3072                     // 000000008B04: DBFE0C00 60000016
	ds_read_b128 a[100:103], v23 offset:3072                   // 000000008B0C: DBFE0C00 64000017
	v_mfma_f32_32x32x64_f8f6f4 a[192:207], a[112:119], v[32:39], a[192:207]// 000000008B14: D3AE80C0 0F024170
	ds_read_b128 a[104:107], v22 offset:4096                   // 000000008B1C: DBFE1000 68000016
	ds_read_b128 a[108:111], v23 offset:4096                   // 000000008B24: DBFE1000 6C000017
	v_mfma_f32_32x32x64_f8f6f4 a[208:223], a[120:127], v[32:39], a[208:223]// 000000008B2C: D3AE80D0 0F424178
	ds_read_b128 a[112:115], v22 offset:5120                   // 000000008B34: DBFE1400 70000016
	ds_read_b128 a[116:119], v23 offset:5120                   // 000000008B3C: DBFE1400 74000017
	v_mfma_f32_32x32x64_f8f6f4 a[224:239], a[128:135], v[32:39], a[224:239]// 000000008B44: D3AE80E0 0F824180
	ds_read_b128 a[120:123], v22 offset:6144                   // 000000008B4C: DBFE1800 78000016
	ds_read_b128 a[124:127], v23 offset:6144                   // 000000008B54: DBFE1800 7C000017
	ds_read_b128 a[128:131], v22 offset:7168                   // 000000008B5C: DBFE1C00 80000016
	ds_read_b128 a[132:135], v23 offset:7168                   // 000000008B64: DBFE1C00 84000017
	ds_read_b128 a[136:139], v22 offset:8192                   // 000000008B6C: DBFE2000 88000016
	ds_read_b128 a[140:143], v23 offset:8192                   // 000000008B74: DBFE2000 8C000017
	s_addk_i32 s70, 0x1                                        // 000000008B7C: B7460001
	s_cmp_lt_i32 s70, s71                                      // 000000008B80: BF044746
	s_cbranch_scc0 label_529C                                  // 000000008B84: BF84FA85
	s_waitcnt lgkmcnt(4)                                       // 000000008B88: BF8CC47F
	v_mfma_f32_32x32x64_f8f6f4 v[32:47], a[72:79], a[0:7], 0   // 000000008B8C: D3AE0020 1A020148
	v_mul_u32_u24_e64 v31, v24, s68                            // 000000008B94: D108001F 00008918
	v_add_u32_e32 v31, v31, v1                                 // 000000008B9C: 683E031F
	buffer_load_dword v26, v27, s[24:27], 0 offen              // 000000008BA0: E0501000 80061A1B
	v_mfma_f32_32x32x64_f8f6f4 v[32:47], a[80:87], a[8:15], v[32:47]// 000000008BA8: D3AE0020 1C821150
	s_mov_b32 s56, 0x14000                                     // 000000008BB0: BEB800FF 00014000
	s_mul_i32 s57, s7, 0x2400                                  // 000000008BB8: 9239FF07 00002400
	s_add_u32 m0, s56, s57                                     // 000000008BC0: 807C3938
	buffer_load_dwordx4 v31, s[20:23], 0 offen lds             // 000000008BC4: E05D1000 8005001F
	s_add_i32 m0, m0, 0x3c0                                    // 000000008BCC: 817CFF7C 000003C0
	v_mfma_f32_32x32x64_f8f6f4 v[32:47], a[88:95], a[16:23], v[32:47]// 000000008BD4: D3AE0020 1C822158
	ds_read_b128 a[72:75], v22 offset:18432                    // 000000008BDC: DBFE4800 48000016
	ds_read_b128 a[76:79], v23 offset:18432                    // 000000008BE4: DBFE4800 4C000017
	v_mfma_f32_32x32x64_f8f6f4 v[32:47], a[96:103], a[24:31], v[32:47]// 000000008BEC: D3AE0020 1C823160
	buffer_load_dwordx4 v31, s[20:23], 0 offen offset:64 lds   // 000000008BF4: E05D1040 8005001F
	s_add_i32 m0, m0, 0x3c0                                    // 000000008BFC: 817CFF7C 000003C0
	ds_read_b128 a[80:83], v22 offset:19456                    // 000000008C04: DBFE4C00 50000016
	ds_read_b128 a[84:87], v23 offset:19456                    // 000000008C0C: DBFE4C00 54000017
	v_mfma_f32_32x32x64_f8f6f4 v[32:47], a[104:111], a[32:39], v[32:47]// 000000008C14: D3AE0020 1C824168
	ds_read_b128 a[88:91], v22 offset:20480                    // 000000008C1C: DBFE5000 58000016
	ds_read_b128 a[92:95], v23 offset:20480                    // 000000008C24: DBFE5000 5C000017
	v_mfma_f32_32x32x64_f8f6f4 v[32:47], a[112:119], a[40:47], v[32:47]// 000000008C2C: D3AE0020 1C825170
	buffer_load_dwordx4 v31, s[20:23], 0 offen offset:128 lds  // 000000008C34: E05D1080 8005001F
	s_add_i32 m0, m0, 0x3c0                                    // 000000008C3C: 817CFF7C 000003C0
	ds_read_b128 a[96:99], v22 offset:21504                    // 000000008C44: DBFE5400 60000016
	ds_read_b128 a[100:103], v23 offset:21504                  // 000000008C4C: DBFE5400 64000017
	v_mfma_f32_32x32x64_f8f6f4 v[32:47], a[120:127], a[48:55], v[32:47]// 000000008C54: D3AE0020 1C826178
	ds_read_b128 a[104:107], v22 offset:22528                  // 000000008C5C: DBFE5800 68000016
	ds_read_b128 a[108:111], v23 offset:22528                  // 000000008C64: DBFE5800 6C000017
	v_mfma_f32_32x32x64_f8f6f4 v[32:47], a[128:135], a[56:63], v[32:47]// 000000008C6C: D3AE0020 1C827180
	buffer_load_dwordx4 v31, s[20:23], 0 offen offset:192 lds  // 000000008C74: E05D10C0 8005001F
	s_add_i32 m0, m0, 0x3c0                                    // 000000008C7C: 817CFF7C 000003C0
	ds_read_b128 a[112:115], v22 offset:23552                  // 000000008C84: DBFE5C00 70000016
	ds_read_b128 a[116:119], v23 offset:23552                  // 000000008C8C: DBFE5C00 74000017
	v_mfma_f32_32x32x64_f8f6f4 v[32:47], a[136:143], a[64:71], v[32:47]// 000000008C94: D3AE0020 1C828188
	ds_read_b128 a[120:123], v22 offset:24576                  // 000000008C9C: DBFE6000 78000016
	ds_read_b128 a[124:127], v23 offset:24576                  // 000000008CA4: DBFE6000 7C000017
	buffer_load_dwordx4 v31, s[20:23], 0 offen offset:256 lds  // 000000008CAC: E05D1100 8005001F
	s_add_i32 m0, m0, 0x3c0                                    // 000000008CB4: 817CFF7C 000003C0
	buffer_load_dwordx4 v31, s[20:23], 0 offen offset:320 lds  // 000000008CBC: E05D1140 8005001F
	s_add_i32 m0, m0, 0x3c0                                    // 000000008CC4: 817CFF7C 000003C0
	buffer_load_dwordx4 v31, s[20:23], 0 offen offset:384 lds  // 000000008CCC: E05D1180 8005001F
	s_add_i32 m0, m0, 0x3c0                                    // 000000008CD4: 817CFF7C 000003C0
	buffer_load_dwordx4 v31, s[20:23], 0 offen offset:448 lds  // 000000008CDC: E05D11C0 8005001F
	s_add_i32 m0, m0, 0x3c0                                    // 000000008CE4: 817CFF7C 000003C0
	buffer_load_dwordx4 v31, s[20:23], 0 offen offset:512 lds  // 000000008CEC: E05D1200 8005001F
	s_add_i32 m0, m0, 0x3c0                                    // 000000008CF4: 817CFF7C 000003C0
	ds_read_b128 a[128:131], v22 offset:25600                  // 000000008CFC: DBFE6400 80000016
	ds_read_b128 a[132:135], v23 offset:25600                  // 000000008D04: DBFE6400 84000017
	ds_read_b128 a[136:139], v22 offset:26624                  // 000000008D0C: DBFE6800 88000016
	ds_read_b128 a[140:143], v23 offset:26624                  // 000000008D14: DBFE6800 8C000017
	v_add_u32_e32 v27, s73, v27                                // 000000008D1C: 68363649
	s_waitcnt lgkmcnt(4)                                       // 000000008D20: BF8CC47F
	v_mfma_f32_32x32x64_f8f6f4 v[48:63], a[72:79], a[0:7], 0   // 000000008D24: D3AE0030 1A020148
	v_mfma_f32_32x32x64_f8f6f4 v[48:63], a[80:87], a[8:15], v[48:63]// 000000008D2C: D3AE0030 1CC21150
	v_mfma_f32_32x32x64_f8f6f4 v[48:63], a[88:95], a[16:23], v[48:63]// 000000008D34: D3AE0030 1CC22158
	ds_read_b64_tr_b8 a[72:73], v13                            // 000000008D3C: DBC40000 4800000D
	ds_read_b64_tr_b8 a[74:75], v14                            // 000000008D44: DBC40000 4A00000E
	ds_read_b64_tr_b8 a[76:77], v13 offset:18432               // 000000008D4C: DBC44800 4C00000D
	ds_read_b64_tr_b8 a[78:79], v14 offset:18432               // 000000008D54: DBC44800 4E00000E
	v_mfma_f32_32x32x64_f8f6f4 v[48:63], a[96:103], a[24:31], v[48:63]// 000000008D5C: D3AE0030 1CC23160
	ds_read_b64_tr_b8 a[80:81], v15                            // 000000008D64: DBC40000 5000000F
	ds_read_b64_tr_b8 a[82:83], v16                            // 000000008D6C: DBC40000 52000010
	ds_read_b64_tr_b8 a[84:85], v15 offset:18432               // 000000008D74: DBC44800 5400000F
	ds_read_b64_tr_b8 a[86:87], v16 offset:18432               // 000000008D7C: DBC44800 56000010
	v_mfma_f32_32x32x64_f8f6f4 v[48:63], a[104:111], a[32:39], v[48:63]// 000000008D84: D3AE0030 1CC24168
	ds_read_b64_tr_b8 a[88:89], v13 offset:1024                // 000000008D8C: DBC40400 5800000D
	ds_read_b64_tr_b8 a[90:91], v14 offset:1024                // 000000008D94: DBC40400 5A00000E
	ds_read_b64_tr_b8 a[92:93], v13 offset:19456               // 000000008D9C: DBC44C00 5C00000D
	ds_read_b64_tr_b8 a[94:95], v14 offset:19456               // 000000008DA4: DBC44C00 5E00000E
	v_mfma_f32_32x32x64_f8f6f4 v[48:63], a[112:119], a[40:47], v[48:63]// 000000008DAC: D3AE0030 1CC25170
	ds_read_b64_tr_b8 a[96:97], v15 offset:1024                // 000000008DB4: DBC40400 6000000F
	ds_read_b64_tr_b8 a[98:99], v16 offset:1024                // 000000008DBC: DBC40400 62000010
	ds_read_b64_tr_b8 a[100:101], v15 offset:19456             // 000000008DC4: DBC44C00 6400000F
	ds_read_b64_tr_b8 a[102:103], v16 offset:19456             // 000000008DCC: DBC44C00 66000010
	v_mfma_f32_32x32x64_f8f6f4 v[48:63], a[120:127], a[48:55], v[48:63]// 000000008DD4: D3AE0030 1CC26178
	ds_read_b64_tr_b8 a[104:105], v13 offset:2048              // 000000008DDC: DBC40800 6800000D
	ds_read_b64_tr_b8 a[106:107], v14 offset:2048              // 000000008DE4: DBC40800 6A00000E
	ds_read_b64_tr_b8 a[108:109], v13 offset:20480             // 000000008DEC: DBC45000 6C00000D
	ds_read_b64_tr_b8 a[110:111], v14 offset:20480             // 000000008DF4: DBC45000 6E00000E
	v_mfma_f32_32x32x64_f8f6f4 v[48:63], a[128:135], a[56:63], v[48:63]// 000000008DFC: D3AE0030 1CC27180
	ds_read_b64_tr_b8 a[112:113], v15 offset:2048              // 000000008E04: DBC40800 7000000F
	ds_read_b64_tr_b8 a[114:115], v16 offset:2048              // 000000008E0C: DBC40800 72000010
	ds_read_b64_tr_b8 a[116:117], v15 offset:20480             // 000000008E14: DBC45000 7400000F
	ds_read_b64_tr_b8 a[118:119], v16 offset:20480             // 000000008E1C: DBC45000 76000010
	v_mfma_f32_32x32x64_f8f6f4 v[48:63], a[136:143], a[64:71], v[48:63]// 000000008E24: D3AE0030 1CC28188
	ds_read_b64_tr_b8 a[120:121], v13 offset:3072              // 000000008E2C: DBC40C00 7800000D
	ds_read_b64_tr_b8 a[122:123], v14 offset:3072              // 000000008E34: DBC40C00 7A00000E
	ds_read_b64_tr_b8 a[124:125], v13 offset:21504             // 000000008E3C: DBC45400 7C00000D
	ds_read_b64_tr_b8 a[126:127], v14 offset:21504             // 000000008E44: DBC45400 7E00000E
	ds_read_b64_tr_b8 a[128:129], v15 offset:3072              // 000000008E4C: DBC40C00 8000000F
	ds_read_b64_tr_b8 a[130:131], v16 offset:3072              // 000000008E54: DBC40C00 82000010
	ds_read_b64_tr_b8 a[132:133], v15 offset:21504             // 000000008E5C: DBC45400 8400000F
	ds_read_b64_tr_b8 a[134:135], v16 offset:21504             // 000000008E64: DBC45400 86000010
	s_cmp_le_i32 s83, s82                                      // 000000008E6C: BF055253
	s_cbranch_scc1 label_6EC4                                  // 000000008E70: BF8500D4
	v_mov_b32_e32 v28, s82                                     // 000000008E74: 7E380252
	s_cmp_eq_i32 s81, 1                                        // 000000008E78: BF008151
	s_cbranch_scc1 label_6BA0                                  // 000000008E7C: BF850008
	s_cmp_eq_i32 s81, 2                                        // 000000008E80: BF008251
	s_cbranch_scc1 label_6B94                                  // 000000008E84: BF850003
	v_add_i32 v28, s7, v28                                     // 000000008E88: D29C001C 00023807
	s_branch label_6BA0                                        // 000000008E90: BF820003

0000000000008e94 <label_6B94>:
	s_lshr_b32 s56, s7, 1                                      // 000000008E94: 8F388107
	v_add_u32_e32 v28, s56, v28                                // 000000008E98: 68383838
	s_branch label_6BA0                                        // 000000008E9C: BF820000

0000000000008ea0 <label_6BA0>:
	s_sub_u32 s56, s83, 63                                     // 000000008EA0: 80B8BF53
	v_lshrrev_b32_e32 v223, 5, v0                              // 000000008EA4: 21BE0085
	v_mul_i32_i24_e32 v223, 4, v223                            // 000000008EA8: 0DBFBE84
	v_add_u32_e32 v223, s56, v223                              // 000000008EAC: 69BFBE38
	v_add_u32_e32 v224, 1, v223                                // 000000008EB0: 69C1BE81
	v_add_u32_e32 v225, 2, v223                                // 000000008EB4: 69C3BE82
	v_add_u32_e32 v226, 3, v223                                // 000000008EB8: 69C5BE83
	v_mov_b32_e32 v31, 0xff800000                              // 000000008EBC: 7E3E02FF FF800000
	v_cmp_le_i32_e64 s[36:37], v223, v28                       // 000000008EC4: D0C30024 000239DF
	s_nop 0                                                    // 000000008ECC: BF800000
	v_cndmask_b32_e64 v32, v31, v32, s[36:37]                  // 000000008ED0: D1000020 0092411F
	v_add_u32_e32 v223, 8, v223                                // 000000008ED8: 69BFBE88
	v_cmp_le_i32_e64 s[36:37], v224, v28                       // 000000008EDC: D0C30024 000239E0
	s_nop 0                                                    // 000000008EE4: BF800000
	v_cndmask_b32_e64 v33, v31, v33, s[36:37]                  // 000000008EE8: D1000021 0092431F
	v_add_u32_e32 v224, 8, v224                                // 000000008EF0: 69C1C088
	v_cmp_le_i32_e64 s[36:37], v225, v28                       // 000000008EF4: D0C30024 000239E1
	s_nop 0                                                    // 000000008EFC: BF800000
	v_cndmask_b32_e64 v34, v31, v34, s[36:37]                  // 000000008F00: D1000022 0092451F
	v_add_u32_e32 v225, 8, v225                                // 000000008F08: 69C3C288
	v_cmp_le_i32_e64 s[36:37], v226, v28                       // 000000008F0C: D0C30024 000239E2
	s_nop 0                                                    // 000000008F14: BF800000
	v_cndmask_b32_e64 v35, v31, v35, s[36:37]                  // 000000008F18: D1000023 0092471F
	v_add_u32_e32 v226, 8, v226                                // 000000008F20: 69C5C488
	v_cmp_le_i32_e64 s[36:37], v223, v28                       // 000000008F24: D0C30024 000239DF
	s_nop 0                                                    // 000000008F2C: BF800000
	v_cndmask_b32_e64 v36, v31, v36, s[36:37]                  // 000000008F30: D1000024 0092491F
	v_add_u32_e32 v223, 8, v223                                // 000000008F38: 69BFBE88
	v_cmp_le_i32_e64 s[36:37], v224, v28                       // 000000008F3C: D0C30024 000239E0
	s_nop 0                                                    // 000000008F44: BF800000
	v_cndmask_b32_e64 v37, v31, v37, s[36:37]                  // 000000008F48: D1000025 00924B1F
	v_add_u32_e32 v224, 8, v224                                // 000000008F50: 69C1C088
	v_cmp_le_i32_e64 s[36:37], v225, v28                       // 000000008F54: D0C30024 000239E1
	s_nop 0                                                    // 000000008F5C: BF800000
	v_cndmask_b32_e64 v38, v31, v38, s[36:37]                  // 000000008F60: D1000026 00924D1F
	v_add_u32_e32 v225, 8, v225                                // 000000008F68: 69C3C288
	v_cmp_le_i32_e64 s[36:37], v226, v28                       // 000000008F6C: D0C30024 000239E2
	s_nop 0                                                    // 000000008F74: BF800000
	v_cndmask_b32_e64 v39, v31, v39, s[36:37]                  // 000000008F78: D1000027 00924F1F
	v_add_u32_e32 v226, 8, v226                                // 000000008F80: 69C5C488
	v_cmp_le_i32_e64 s[36:37], v223, v28                       // 000000008F84: D0C30024 000239DF
	s_nop 0                                                    // 000000008F8C: BF800000
	v_cndmask_b32_e64 v40, v31, v40, s[36:37]                  // 000000008F90: D1000028 0092511F
	v_add_u32_e32 v223, 8, v223                                // 000000008F98: 69BFBE88
	v_cmp_le_i32_e64 s[36:37], v224, v28                       // 000000008F9C: D0C30024 000239E0
	s_nop 0                                                    // 000000008FA4: BF800000
	v_cndmask_b32_e64 v41, v31, v41, s[36:37]                  // 000000008FA8: D1000029 0092531F
	v_add_u32_e32 v224, 8, v224                                // 000000008FB0: 69C1C088
	v_cmp_le_i32_e64 s[36:37], v225, v28                       // 000000008FB4: D0C30024 000239E1
	s_nop 0                                                    // 000000008FBC: BF800000
	v_cndmask_b32_e64 v42, v31, v42, s[36:37]                  // 000000008FC0: D100002A 0092551F
	v_add_u32_e32 v225, 8, v225                                // 000000008FC8: 69C3C288
	v_cmp_le_i32_e64 s[36:37], v226, v28                       // 000000008FCC: D0C30024 000239E2
	s_nop 0                                                    // 000000008FD4: BF800000
	v_cndmask_b32_e64 v43, v31, v43, s[36:37]                  // 000000008FD8: D100002B 0092571F
	v_add_u32_e32 v226, 8, v226                                // 000000008FE0: 69C5C488
	v_cmp_le_i32_e64 s[36:37], v223, v28                       // 000000008FE4: D0C30024 000239DF
	s_nop 0                                                    // 000000008FEC: BF800000
	v_cndmask_b32_e64 v44, v31, v44, s[36:37]                  // 000000008FF0: D100002C 0092591F
	v_add_u32_e32 v223, 8, v223                                // 000000008FF8: 69BFBE88
	v_cmp_le_i32_e64 s[36:37], v224, v28                       // 000000008FFC: D0C30024 000239E0
	s_nop 0                                                    // 000000009004: BF800000
	v_cndmask_b32_e64 v45, v31, v45, s[36:37]                  // 000000009008: D100002D 00925B1F
	v_add_u32_e32 v224, 8, v224                                // 000000009010: 69C1C088
	v_cmp_le_i32_e64 s[36:37], v225, v28                       // 000000009014: D0C30024 000239E1
	s_nop 0                                                    // 00000000901C: BF800000
	v_cndmask_b32_e64 v46, v31, v46, s[36:37]                  // 000000009020: D100002E 00925D1F
	v_add_u32_e32 v225, 8, v225                                // 000000009028: 69C3C288
	v_cmp_le_i32_e64 s[36:37], v226, v28                       // 00000000902C: D0C30024 000239E2
	s_nop 0                                                    // 000000009034: BF800000
	v_cndmask_b32_e64 v47, v31, v47, s[36:37]                  // 000000009038: D100002F 00925F1F
	v_add_u32_e32 v226, 8, v226                                // 000000009040: 69C5C488
	v_cmp_le_i32_e64 s[36:37], v223, v28                       // 000000009044: D0C30024 000239DF
	s_nop 0                                                    // 00000000904C: BF800000
	v_cndmask_b32_e64 v48, v31, v48, s[36:37]                  // 000000009050: D1000030 0092611F
	v_add_u32_e32 v223, 8, v223                                // 000000009058: 69BFBE88
	v_cmp_le_i32_e64 s[36:37], v224, v28                       // 00000000905C: D0C30024 000239E0
	s_nop 0                                                    // 000000009064: BF800000
	v_cndmask_b32_e64 v49, v31, v49, s[36:37]                  // 000000009068: D1000031 0092631F
	v_add_u32_e32 v224, 8, v224                                // 000000009070: 69C1C088
	v_cmp_le_i32_e64 s[36:37], v225, v28                       // 000000009074: D0C30024 000239E1
	s_nop 0                                                    // 00000000907C: BF800000
	v_cndmask_b32_e64 v50, v31, v50, s[36:37]                  // 000000009080: D1000032 0092651F
	v_add_u32_e32 v225, 8, v225                                // 000000009088: 69C3C288
	v_cmp_le_i32_e64 s[36:37], v226, v28                       // 00000000908C: D0C30024 000239E2
	s_nop 0                                                    // 000000009094: BF800000
	v_cndmask_b32_e64 v51, v31, v51, s[36:37]                  // 000000009098: D1000033 0092671F
	v_add_u32_e32 v226, 8, v226                                // 0000000090A0: 69C5C488
	v_cmp_le_i32_e64 s[36:37], v223, v28                       // 0000000090A4: D0C30024 000239DF
	s_nop 0                                                    // 0000000090AC: BF800000
	v_cndmask_b32_e64 v52, v31, v52, s[36:37]                  // 0000000090B0: D1000034 0092691F
	v_add_u32_e32 v223, 8, v223                                // 0000000090B8: 69BFBE88
	v_cmp_le_i32_e64 s[36:37], v224, v28                       // 0000000090BC: D0C30024 000239E0
	s_nop 0                                                    // 0000000090C4: BF800000
	v_cndmask_b32_e64 v53, v31, v53, s[36:37]                  // 0000000090C8: D1000035 00926B1F
	v_add_u32_e32 v224, 8, v224                                // 0000000090D0: 69C1C088
	v_cmp_le_i32_e64 s[36:37], v225, v28                       // 0000000090D4: D0C30024 000239E1
	s_nop 0                                                    // 0000000090DC: BF800000
	v_cndmask_b32_e64 v54, v31, v54, s[36:37]                  // 0000000090E0: D1000036 00926D1F
	v_add_u32_e32 v225, 8, v225                                // 0000000090E8: 69C3C288
	v_cmp_le_i32_e64 s[36:37], v226, v28                       // 0000000090EC: D0C30024 000239E2
	s_nop 0                                                    // 0000000090F4: BF800000
	v_cndmask_b32_e64 v55, v31, v55, s[36:37]                  // 0000000090F8: D1000037 00926F1F
	v_add_u32_e32 v226, 8, v226                                // 000000009100: 69C5C488
	v_cmp_le_i32_e64 s[36:37], v223, v28                       // 000000009104: D0C30024 000239DF
	s_nop 0                                                    // 00000000910C: BF800000
	v_cndmask_b32_e64 v56, v31, v56, s[36:37]                  // 000000009110: D1000038 0092711F
	v_add_u32_e32 v223, 8, v223                                // 000000009118: 69BFBE88
	v_cmp_le_i32_e64 s[36:37], v224, v28                       // 00000000911C: D0C30024 000239E0
	s_nop 0                                                    // 000000009124: BF800000
	v_cndmask_b32_e64 v57, v31, v57, s[36:37]                  // 000000009128: D1000039 0092731F
	v_add_u32_e32 v224, 8, v224                                // 000000009130: 69C1C088
	v_cmp_le_i32_e64 s[36:37], v225, v28                       // 000000009134: D0C30024 000239E1
	s_nop 0                                                    // 00000000913C: BF800000
	v_cndmask_b32_e64 v58, v31, v58, s[36:37]                  // 000000009140: D100003A 0092751F
	v_add_u32_e32 v225, 8, v225                                // 000000009148: 69C3C288
	v_cmp_le_i32_e64 s[36:37], v226, v28                       // 00000000914C: D0C30024 000239E2
	s_nop 0                                                    // 000000009154: BF800000
	v_cndmask_b32_e64 v59, v31, v59, s[36:37]                  // 000000009158: D100003B 0092771F
	v_add_u32_e32 v226, 8, v226                                // 000000009160: 69C5C488
	v_cmp_le_i32_e64 s[36:37], v223, v28                       // 000000009164: D0C30024 000239DF
	s_nop 0                                                    // 00000000916C: BF800000
	v_cndmask_b32_e64 v60, v31, v60, s[36:37]                  // 000000009170: D100003C 0092791F
	v_add_u32_e32 v223, 8, v223                                // 000000009178: 69BFBE88
	v_cmp_le_i32_e64 s[36:37], v224, v28                       // 00000000917C: D0C30024 000239E0
	s_nop 0                                                    // 000000009184: BF800000
	v_cndmask_b32_e64 v61, v31, v61, s[36:37]                  // 000000009188: D100003D 00927B1F
	v_add_u32_e32 v224, 8, v224                                // 000000009190: 69C1C088
	v_cmp_le_i32_e64 s[36:37], v225, v28                       // 000000009194: D0C30024 000239E1
	s_nop 0                                                    // 00000000919C: BF800000
	v_cndmask_b32_e64 v62, v31, v62, s[36:37]                  // 0000000091A0: D100003E 00927D1F
	v_add_u32_e32 v225, 8, v225                                // 0000000091A8: 69C3C288
	v_cmp_le_i32_e64 s[36:37], v226, v28                       // 0000000091AC: D0C30024 000239E2
	s_nop 0                                                    // 0000000091B4: BF800000
	v_cndmask_b32_e64 v63, v31, v63, s[36:37]                  // 0000000091B8: D100003F 00927F1F
	v_add_u32_e32 v226, 8, v226                                // 0000000091C0: 69C5C488

00000000000091c4 <label_6EC4>:
	s_add_u32 s83, s84, s83                                    // 0000000091C4: 80535354
	s_nop 2                                                    // 0000000091C8: BF800002
	v_mov_b32_e32 v29, v32                                     // 0000000091CC: 7E3A0320
	v_max3_f32 v29, v32, v33, v29                              // 0000000091D0: D1D3001D 04764320
	v_max3_f32 v29, v34, v35, v29                              // 0000000091D8: D1D3001D 04764722
	v_max3_f32 v29, v36, v37, v29                              // 0000000091E0: D1D3001D 04764B24
	v_max3_f32 v29, v38, v39, v29                              // 0000000091E8: D1D3001D 04764F26
	v_max3_f32 v29, v40, v41, v29                              // 0000000091F0: D1D3001D 04765328
	v_max3_f32 v29, v42, v43, v29                              // 0000000091F8: D1D3001D 0476572A
	v_max3_f32 v29, v44, v45, v29                              // 000000009200: D1D3001D 04765B2C
	v_max3_f32 v29, v46, v47, v29                              // 000000009208: D1D3001D 04765F2E
	v_max3_f32 v29, v48, v49, v29                              // 000000009210: D1D3001D 04766330
	v_max3_f32 v29, v50, v51, v29                              // 000000009218: D1D3001D 04766732
	v_max3_f32 v29, v52, v53, v29                              // 000000009220: D1D3001D 04766B34
	v_max3_f32 v29, v54, v55, v29                              // 000000009228: D1D3001D 04766F36
	v_max3_f32 v29, v56, v57, v29                              // 000000009230: D1D3001D 04767338
	v_max3_f32 v29, v58, v59, v29                              // 000000009238: D1D3001D 0476773A
	v_max3_f32 v29, v60, v61, v29                              // 000000009240: D1D3001D 04767B3C
	v_max3_f32 v29, v62, v63, v29                              // 000000009248: D1D3001D 04767F3E
	v_mov_b32_e32 v28, v29                                     // 000000009250: 7E38031D
	v_mov_b32_e32 v29, v29                                     // 000000009254: 7E3A031D
	s_nop 1                                                    // 000000009258: BF800001
	v_permlane32_swap_b32_e32 v28, v29                         // 00000000925C: 7E38B51D
	v_max3_f32 v29, v28, v29, v29                              // 000000009260: D1D3001D 04763B1C
	v_mov_b32_e32 v28, 0xff800000                              // 000000009268: 7E3802FF FF800000
	v_cmp_eq_u32_e64 s[36:37], v28, v2                         // 000000009270: D0CA0024 0002051C
	v_max_f32_e32 v29, v29, v2                                 // 000000009278: 163A051D
	v_sub_f32_e32 v17, v2, v29                                 // 00000000927C: 04223B02
	v_cndmask_b32_e64 v17, v17, 0, s[36:37]                    // 000000009280: D1000011 00910111
	v_mov_b32_e32 v2, v29                                      // 000000009288: 7E04031D
	v_mul_f32_e32 v29, s5, v29                                 // 00000000928C: 0A3A3A05
	v_mul_f32_e32 v17, s5, v17                                 // 000000009290: 0A222205
	v_exp_f32_e32 v17, v17                                     // 000000009294: 7E224111
	v_fma_f32 v32, v32, s5, -v29                               // 000000009298: D1CB0020 84740B20
	v_fma_f32 v33, v33, s5, -v29                               // 0000000092A0: D1CB0021 84740B21
	v_fma_f32 v34, v34, s5, -v29                               // 0000000092A8: D1CB0022 84740B22
	v_fma_f32 v35, v35, s5, -v29                               // 0000000092B0: D1CB0023 84740B23
	v_fma_f32 v36, v36, s5, -v29                               // 0000000092B8: D1CB0024 84740B24
	v_fma_f32 v37, v37, s5, -v29                               // 0000000092C0: D1CB0025 84740B25
	v_fma_f32 v38, v38, s5, -v29                               // 0000000092C8: D1CB0026 84740B26
	v_fma_f32 v39, v39, s5, -v29                               // 0000000092D0: D1CB0027 84740B27
	v_fma_f32 v40, v40, s5, -v29                               // 0000000092D8: D1CB0028 84740B28
	v_fma_f32 v41, v41, s5, -v29                               // 0000000092E0: D1CB0029 84740B29
	v_fma_f32 v42, v42, s5, -v29                               // 0000000092E8: D1CB002A 84740B2A
	v_fma_f32 v43, v43, s5, -v29                               // 0000000092F0: D1CB002B 84740B2B
	v_fma_f32 v44, v44, s5, -v29                               // 0000000092F8: D1CB002C 84740B2C
	v_fma_f32 v45, v45, s5, -v29                               // 000000009300: D1CB002D 84740B2D
	v_fma_f32 v46, v46, s5, -v29                               // 000000009308: D1CB002E 84740B2E
	v_fma_f32 v47, v47, s5, -v29                               // 000000009310: D1CB002F 84740B2F
	v_fma_f32 v48, v48, s5, -v29                               // 000000009318: D1CB0030 84740B30
	v_fma_f32 v49, v49, s5, -v29                               // 000000009320: D1CB0031 84740B31
	v_fma_f32 v50, v50, s5, -v29                               // 000000009328: D1CB0032 84740B32
	v_fma_f32 v51, v51, s5, -v29                               // 000000009330: D1CB0033 84740B33
	v_fma_f32 v52, v52, s5, -v29                               // 000000009338: D1CB0034 84740B34
	v_fma_f32 v53, v53, s5, -v29                               // 000000009340: D1CB0035 84740B35
	v_fma_f32 v54, v54, s5, -v29                               // 000000009348: D1CB0036 84740B36
	v_fma_f32 v55, v55, s5, -v29                               // 000000009350: D1CB0037 84740B37
	v_fma_f32 v56, v56, s5, -v29                               // 000000009358: D1CB0038 84740B38
	v_fma_f32 v57, v57, s5, -v29                               // 000000009360: D1CB0039 84740B39
	v_fma_f32 v58, v58, s5, -v29                               // 000000009368: D1CB003A 84740B3A
	v_fma_f32 v59, v59, s5, -v29                               // 000000009370: D1CB003B 84740B3B
	v_fma_f32 v60, v60, s5, -v29                               // 000000009378: D1CB003C 84740B3C
	v_fma_f32 v61, v61, s5, -v29                               // 000000009380: D1CB003D 84740B3D
	v_fma_f32 v62, v62, s5, -v29                               // 000000009388: D1CB003E 84740B3E
	v_fma_f32 v63, v63, s5, -v29                               // 000000009390: D1CB003F 84740B3F
	v_exp_f32_e32 v32, v32                                     // 000000009398: 7E404120
	v_exp_f32_e32 v33, v33                                     // 00000000939C: 7E424121
	v_exp_f32_e32 v34, v34                                     // 0000000093A0: 7E444122
	v_exp_f32_e32 v35, v35                                     // 0000000093A4: 7E464123
	v_exp_f32_e32 v36, v36                                     // 0000000093A8: 7E484124
	v_exp_f32_e32 v37, v37                                     // 0000000093AC: 7E4A4125
	v_exp_f32_e32 v38, v38                                     // 0000000093B0: 7E4C4126
	v_exp_f32_e32 v39, v39                                     // 0000000093B4: 7E4E4127
	v_exp_f32_e32 v40, v40                                     // 0000000093B8: 7E504128
	v_exp_f32_e32 v41, v41                                     // 0000000093BC: 7E524129
	v_exp_f32_e32 v42, v42                                     // 0000000093C0: 7E54412A
	v_exp_f32_e32 v43, v43                                     // 0000000093C4: 7E56412B
	v_exp_f32_e32 v44, v44                                     // 0000000093C8: 7E58412C
	v_exp_f32_e32 v45, v45                                     // 0000000093CC: 7E5A412D
	v_exp_f32_e32 v46, v46                                     // 0000000093D0: 7E5C412E
	v_exp_f32_e32 v47, v47                                     // 0000000093D4: 7E5E412F
	v_exp_f32_e32 v48, v48                                     // 0000000093D8: 7E604130
	v_exp_f32_e32 v49, v49                                     // 0000000093DC: 7E624131
	v_exp_f32_e32 v50, v50                                     // 0000000093E0: 7E644132
	v_exp_f32_e32 v51, v51                                     // 0000000093E4: 7E664133
	v_exp_f32_e32 v52, v52                                     // 0000000093E8: 7E684134
	v_exp_f32_e32 v53, v53                                     // 0000000093EC: 7E6A4135
	v_exp_f32_e32 v54, v54                                     // 0000000093F0: 7E6C4136
	v_exp_f32_e32 v55, v55                                     // 0000000093F4: 7E6E4137
	v_exp_f32_e32 v56, v56                                     // 0000000093F8: 7E704138
	v_exp_f32_e32 v57, v57                                     // 0000000093FC: 7E724139
	v_exp_f32_e32 v58, v58                                     // 000000009400: 7E74413A
	v_exp_f32_e32 v59, v59                                     // 000000009404: 7E76413B
	v_exp_f32_e32 v60, v60                                     // 000000009408: 7E78413C
	v_exp_f32_e32 v61, v61                                     // 00000000940C: 7E7A413D
	v_exp_f32_e32 v62, v62                                     // 000000009410: 7E7C413E
	v_exp_f32_e32 v63, v63                                     // 000000009414: 7E7E413F
	v_mul_f32_e32 v4, v17, v4                                  // 000000009418: 0A080911
	v_mov_b32_e32 v28, v32                                     // 00000000941C: 7E380320
	v_add_f32_e32 v28, v33, v28                                // 000000009420: 02383921
	v_add_f32_e32 v28, v34, v28                                // 000000009424: 02383922
	;; [unrolled: 1-line block ×3, first 2 shown]
	v_add_f32_e32 v28, v36, v28                                // 00000000942C: 02383924
	v_add_f32_e32 v28, v37, v28                                // 000000009430: 02383925
	v_add_f32_e32 v28, v38, v28                                // 000000009434: 02383926
	;; [unrolled: 1-line block ×3, first 2 shown]
	v_add_f32_e32 v28, v40, v28                                // 00000000943C: 02383928
	v_add_f32_e32 v28, v41, v28                                // 000000009440: 02383929
	v_add_f32_e32 v28, v42, v28                                // 000000009444: 0238392A
	v_add_f32_e32 v28, v43, v28                                // 000000009448: 0238392B
	v_add_f32_e32 v28, v44, v28                                // 00000000944C: 0238392C
	v_add_f32_e32 v28, v45, v28                                // 000000009450: 0238392D
	v_add_f32_e32 v28, v46, v28                                // 000000009454: 0238392E
	v_add_f32_e32 v28, v47, v28                                // 000000009458: 0238392F
	v_add_f32_e32 v28, v48, v28                                // 00000000945C: 02383930
	v_add_f32_e32 v28, v49, v28                                // 000000009460: 02383931
	v_add_f32_e32 v28, v50, v28                                // 000000009464: 02383932
	;; [unrolled: 1-line block ×3, first 2 shown]
	v_add_f32_e32 v28, v52, v28                                // 00000000946C: 02383934
	v_add_f32_e32 v28, v53, v28                                // 000000009470: 02383935
	v_add_f32_e32 v28, v54, v28                                // 000000009474: 02383936
	;; [unrolled: 1-line block ×3, first 2 shown]
	v_add_f32_e32 v28, v56, v28                                // 00000000947C: 02383938
	v_add_f32_e32 v28, v57, v28                                // 000000009480: 02383939
	v_add_f32_e32 v28, v58, v28                                // 000000009484: 0238393A
	v_add_f32_e32 v28, v59, v28                                // 000000009488: 0238393B
	v_add_f32_e32 v28, v60, v28                                // 00000000948C: 0238393C
	v_add_f32_e32 v28, v61, v28                                // 000000009490: 0238393D
	v_add_f32_e32 v28, v62, v28                                // 000000009494: 0238393E
	v_add_f32_e32 v28, v63, v28                                // 000000009498: 0238393F
	v_add_f32_e32 v4, v28, v4                                  // 00000000949C: 0208091C
	v_cvt_pk_fp8_f32 v32, v32, v33                             // 0000000094A0: D2A20020 00024320
	v_cvt_pk_fp8_f32 v32, v34, v35 op_sel:[0,0,1]              // 0000000094A8: D2A24020 00024722
	v_cvt_pk_fp8_f32 v33, v36, v37                             // 0000000094B0: D2A20021 00024B24
	v_cvt_pk_fp8_f32 v33, v38, v39 op_sel:[0,0,1]              // 0000000094B8: D2A24021 00024F26
	v_cvt_pk_fp8_f32 v34, v40, v41                             // 0000000094C0: D2A20022 00025328
	v_cvt_pk_fp8_f32 v34, v42, v43 op_sel:[0,0,1]              // 0000000094C8: D2A24022 0002572A
	v_cvt_pk_fp8_f32 v35, v44, v45                             // 0000000094D0: D2A20023 00025B2C
	v_cvt_pk_fp8_f32 v35, v46, v47 op_sel:[0,0,1]              // 0000000094D8: D2A24023 00025F2E
	v_cvt_pk_fp8_f32 v36, v48, v49                             // 0000000094E0: D2A20024 00026330
	v_cvt_pk_fp8_f32 v36, v50, v51 op_sel:[0,0,1]              // 0000000094E8: D2A24024 00026732
	v_cvt_pk_fp8_f32 v37, v52, v53                             // 0000000094F0: D2A20025 00026B34
	v_cvt_pk_fp8_f32 v37, v54, v55 op_sel:[0,0,1]              // 0000000094F8: D2A24025 00026F36
	v_cvt_pk_fp8_f32 v38, v56, v57                             // 000000009500: D2A20026 00027338
	v_cvt_pk_fp8_f32 v38, v58, v59 op_sel:[0,0,1]              // 000000009508: D2A24026 0002773A
	v_cvt_pk_fp8_f32 v39, v60, v61                             // 000000009510: D2A20027 00027B3C
	v_cvt_pk_fp8_f32 v39, v62, v63 op_sel:[0,0,1]              // 000000009518: D2A24027 00027F3E
	v_permlane32_swap_b32_e32 v32, v34                         // 000000009520: 7E40B522
	v_permlane32_swap_b32_e32 v33, v35                         // 000000009524: 7E42B523
	v_swap_b32 v33, v34                                        // 000000009528: 7E42A322
	v_permlane32_swap_b32_e32 v36, v38                         // 00000000952C: 7E48B526
	v_permlane32_swap_b32_e32 v37, v39                         // 000000009530: 7E4AB527
	v_swap_b32 v37, v38                                        // 000000009534: 7E4AA326
	v_mov_b32_e32 v28, v17                                     // 000000009538: 7E380311
	v_mul_f32_e32 v64, v28, v64                                // 00000000953C: 0A80811C
	v_mul_f32_e32 v65, v28, v65                                // 000000009540: 0A82831C
	v_mul_f32_e32 v66, v28, v66                                // 000000009544: 0A84851C
	v_mul_f32_e32 v67, v28, v67                                // 000000009548: 0A86871C
	v_mul_f32_e32 v68, v28, v68                                // 00000000954C: 0A88891C
	v_mul_f32_e32 v69, v28, v69                                // 000000009550: 0A8A8B1C
	v_mul_f32_e32 v70, v28, v70                                // 000000009554: 0A8C8D1C
	v_mul_f32_e32 v71, v28, v71                                // 000000009558: 0A8E8F1C
	v_mul_f32_e32 v72, v28, v72                                // 00000000955C: 0A90911C
	v_mul_f32_e32 v73, v28, v73                                // 000000009560: 0A92931C
	v_mul_f32_e32 v74, v28, v74                                // 000000009564: 0A94951C
	v_mul_f32_e32 v75, v28, v75                                // 000000009568: 0A96971C
	v_mul_f32_e32 v76, v28, v76                                // 00000000956C: 0A98991C
	v_mul_f32_e32 v77, v28, v77                                // 000000009570: 0A9A9B1C
	v_mul_f32_e32 v78, v28, v78                                // 000000009574: 0A9C9D1C
	v_mul_f32_e32 v79, v28, v79                                // 000000009578: 0A9E9F1C
	v_mul_f32_e32 v80, v28, v80                                // 00000000957C: 0AA0A11C
	v_mul_f32_e32 v81, v28, v81                                // 000000009580: 0AA2A31C
	v_mul_f32_e32 v82, v28, v82                                // 000000009584: 0AA4A51C
	v_mul_f32_e32 v83, v28, v83                                // 000000009588: 0AA6A71C
	v_mul_f32_e32 v84, v28, v84                                // 00000000958C: 0AA8A91C
	v_mul_f32_e32 v85, v28, v85                                // 000000009590: 0AAAAB1C
	v_mul_f32_e32 v86, v28, v86                                // 000000009594: 0AACAD1C
	v_mul_f32_e32 v87, v28, v87                                // 000000009598: 0AAEAF1C
	v_mul_f32_e32 v88, v28, v88                                // 00000000959C: 0AB0B11C
	v_mul_f32_e32 v89, v28, v89                                // 0000000095A0: 0AB2B31C
	v_mul_f32_e32 v90, v28, v90                                // 0000000095A4: 0AB4B51C
	v_mul_f32_e32 v91, v28, v91                                // 0000000095A8: 0AB6B71C
	v_mul_f32_e32 v92, v28, v92                                // 0000000095AC: 0AB8B91C
	v_mul_f32_e32 v93, v28, v93                                // 0000000095B0: 0ABABB1C
	v_mul_f32_e32 v94, v28, v94                                // 0000000095B4: 0ABCBD1C
	v_mul_f32_e32 v95, v28, v95                                // 0000000095B8: 0ABEBF1C
	v_mul_f32_e32 v96, v28, v96                                // 0000000095BC: 0AC0C11C
	v_mul_f32_e32 v97, v28, v97                                // 0000000095C0: 0AC2C31C
	v_mul_f32_e32 v98, v28, v98                                // 0000000095C4: 0AC4C51C
	v_mul_f32_e32 v99, v28, v99                                // 0000000095C8: 0AC6C71C
	v_mul_f32_e32 v100, v28, v100                              // 0000000095CC: 0AC8C91C
	v_mul_f32_e32 v101, v28, v101                              // 0000000095D0: 0ACACB1C
	v_mul_f32_e32 v102, v28, v102                              // 0000000095D4: 0ACCCD1C
	v_mul_f32_e32 v103, v28, v103                              // 0000000095D8: 0ACECF1C
	v_mul_f32_e32 v104, v28, v104                              // 0000000095DC: 0AD0D11C
	v_mul_f32_e32 v105, v28, v105                              // 0000000095E0: 0AD2D31C
	v_mul_f32_e32 v106, v28, v106                              // 0000000095E4: 0AD4D51C
	v_mul_f32_e32 v107, v28, v107                              // 0000000095E8: 0AD6D71C
	v_mul_f32_e32 v108, v28, v108                              // 0000000095EC: 0AD8D91C
	v_mul_f32_e32 v109, v28, v109                              // 0000000095F0: 0ADADB1C
	v_mul_f32_e32 v110, v28, v110                              // 0000000095F4: 0ADCDD1C
	v_mul_f32_e32 v111, v28, v111                              // 0000000095F8: 0ADEDF1C
	v_mul_f32_e32 v112, v28, v112                              // 0000000095FC: 0AE0E11C
	v_mul_f32_e32 v113, v28, v113                              // 000000009600: 0AE2E31C
	v_mul_f32_e32 v114, v28, v114                              // 000000009604: 0AE4E51C
	v_mul_f32_e32 v115, v28, v115                              // 000000009608: 0AE6E71C
	v_mul_f32_e32 v116, v28, v116                              // 00000000960C: 0AE8E91C
	v_mul_f32_e32 v117, v28, v117                              // 000000009610: 0AEAEB1C
	v_mul_f32_e32 v118, v28, v118                              // 000000009614: 0AECED1C
	v_mul_f32_e32 v119, v28, v119                              // 000000009618: 0AEEEF1C
	v_mul_f32_e32 v120, v28, v120                              // 00000000961C: 0AF0F11C
	v_mul_f32_e32 v121, v28, v121                              // 000000009620: 0AF2F31C
	v_mul_f32_e32 v122, v28, v122                              // 000000009624: 0AF4F51C
	v_mul_f32_e32 v123, v28, v123                              // 000000009628: 0AF6F71C
	v_mul_f32_e32 v124, v28, v124                              // 00000000962C: 0AF8F91C
	v_mul_f32_e32 v125, v28, v125                              // 000000009630: 0AFAFB1C
	v_mul_f32_e32 v126, v28, v126                              // 000000009634: 0AFCFD1C
	v_mul_f32_e32 v127, v28, v127                              // 000000009638: 0AFEFF1C
	v_mul_f32_e32 v128, v28, v128                              // 00000000963C: 0B01011C
	v_mul_f32_e32 v129, v28, v129                              // 000000009640: 0B03031C
	v_mul_f32_e32 v130, v28, v130                              // 000000009644: 0B05051C
	v_mul_f32_e32 v131, v28, v131                              // 000000009648: 0B07071C
	v_mul_f32_e32 v132, v28, v132                              // 00000000964C: 0B09091C
	v_mul_f32_e32 v133, v28, v133                              // 000000009650: 0B0B0B1C
	v_mul_f32_e32 v134, v28, v134                              // 000000009654: 0B0D0D1C
	v_mul_f32_e32 v135, v28, v135                              // 000000009658: 0B0F0F1C
	v_mul_f32_e32 v136, v28, v136                              // 00000000965C: 0B11111C
	v_mul_f32_e32 v137, v28, v137                              // 000000009660: 0B13131C
	v_mul_f32_e32 v138, v28, v138                              // 000000009664: 0B15151C
	v_mul_f32_e32 v139, v28, v139                              // 000000009668: 0B17171C
	v_mul_f32_e32 v140, v28, v140                              // 00000000966C: 0B19191C
	v_mul_f32_e32 v141, v28, v141                              // 000000009670: 0B1B1B1C
	v_mul_f32_e32 v142, v28, v142                              // 000000009674: 0B1D1D1C
	v_mul_f32_e32 v143, v28, v143                              // 000000009678: 0B1F1F1C
	v_mul_f32_e32 v144, v28, v144                              // 00000000967C: 0B21211C
	v_mul_f32_e32 v145, v28, v145                              // 000000009680: 0B23231C
	v_mul_f32_e32 v146, v28, v146                              // 000000009684: 0B25251C
	v_mul_f32_e32 v147, v28, v147                              // 000000009688: 0B27271C
	v_mul_f32_e32 v148, v28, v148                              // 00000000968C: 0B29291C
	v_mul_f32_e32 v149, v28, v149                              // 000000009690: 0B2B2B1C
	v_mul_f32_e32 v150, v28, v150                              // 000000009694: 0B2D2D1C
	v_mul_f32_e32 v151, v28, v151                              // 000000009698: 0B2F2F1C
	v_mul_f32_e32 v152, v28, v152                              // 00000000969C: 0B31311C
	v_mul_f32_e32 v153, v28, v153                              // 0000000096A0: 0B33331C
	v_mul_f32_e32 v154, v28, v154                              // 0000000096A4: 0B35351C
	v_mul_f32_e32 v155, v28, v155                              // 0000000096A8: 0B37371C
	v_mul_f32_e32 v156, v28, v156                              // 0000000096AC: 0B39391C
	v_mul_f32_e32 v157, v28, v157                              // 0000000096B0: 0B3B3B1C
	v_mul_f32_e32 v158, v28, v158                              // 0000000096B4: 0B3D3D1C
	v_mul_f32_e32 v159, v28, v159                              // 0000000096B8: 0B3F3F1C
	v_mul_f32_e32 v160, v28, v160                              // 0000000096BC: 0B41411C
	v_mul_f32_e32 v161, v28, v161                              // 0000000096C0: 0B43431C
	v_mul_f32_e32 v162, v28, v162                              // 0000000096C4: 0B45451C
	v_mul_f32_e32 v163, v28, v163                              // 0000000096C8: 0B47471C
	v_mul_f32_e32 v164, v28, v164                              // 0000000096CC: 0B49491C
	v_mul_f32_e32 v165, v28, v165                              // 0000000096D0: 0B4B4B1C
	v_mul_f32_e32 v166, v28, v166                              // 0000000096D4: 0B4D4D1C
	v_mul_f32_e32 v167, v28, v167                              // 0000000096D8: 0B4F4F1C
	v_mul_f32_e32 v168, v28, v168                              // 0000000096DC: 0B51511C
	v_mul_f32_e32 v169, v28, v169                              // 0000000096E0: 0B53531C
	v_mul_f32_e32 v170, v28, v170                              // 0000000096E4: 0B55551C
	v_mul_f32_e32 v171, v28, v171                              // 0000000096E8: 0B57571C
	v_mul_f32_e32 v172, v28, v172                              // 0000000096EC: 0B59591C
	v_mul_f32_e32 v173, v28, v173                              // 0000000096F0: 0B5B5B1C
	v_mul_f32_e32 v174, v28, v174                              // 0000000096F4: 0B5D5D1C
	v_mul_f32_e32 v175, v28, v175                              // 0000000096F8: 0B5F5F1C
	v_mul_f32_e32 v176, v28, v176                              // 0000000096FC: 0B61611C
	v_mul_f32_e32 v177, v28, v177                              // 000000009700: 0B63631C
	v_mul_f32_e32 v178, v28, v178                              // 000000009704: 0B65651C
	v_mul_f32_e32 v179, v28, v179                              // 000000009708: 0B67671C
	v_mul_f32_e32 v180, v28, v180                              // 00000000970C: 0B69691C
	v_mul_f32_e32 v181, v28, v181                              // 000000009710: 0B6B6B1C
	v_mul_f32_e32 v182, v28, v182                              // 000000009714: 0B6D6D1C
	v_mul_f32_e32 v183, v28, v183                              // 000000009718: 0B6F6F1C
	v_mul_f32_e32 v184, v28, v184                              // 00000000971C: 0B71711C
	v_mul_f32_e32 v185, v28, v185                              // 000000009720: 0B73731C
	v_mul_f32_e32 v186, v28, v186                              // 000000009724: 0B75751C
	v_mul_f32_e32 v187, v28, v187                              // 000000009728: 0B77771C
	v_mul_f32_e32 v188, v28, v188                              // 00000000972C: 0B79791C
	v_mul_f32_e32 v189, v28, v189                              // 000000009730: 0B7B7B1C
	v_mul_f32_e32 v190, v28, v190                              // 000000009734: 0B7D7D1C
	v_mul_f32_e32 v191, v28, v191                              // 000000009738: 0B7F7F1C
	v_mul_f32_e32 v192, v28, v192                              // 00000000973C: 0B81811C
	v_mul_f32_e32 v193, v28, v193                              // 000000009740: 0B83831C
	v_mul_f32_e32 v194, v28, v194                              // 000000009744: 0B85851C
	v_mul_f32_e32 v195, v28, v195                              // 000000009748: 0B87871C
	v_mul_f32_e32 v196, v28, v196                              // 00000000974C: 0B89891C
	v_mul_f32_e32 v197, v28, v197                              // 000000009750: 0B8B8B1C
	v_mul_f32_e32 v198, v28, v198                              // 000000009754: 0B8D8D1C
	v_mul_f32_e32 v199, v28, v199                              // 000000009758: 0B8F8F1C
	v_mul_f32_e32 v200, v28, v200                              // 00000000975C: 0B91911C
	v_mul_f32_e32 v201, v28, v201                              // 000000009760: 0B93931C
	v_mul_f32_e32 v202, v28, v202                              // 000000009764: 0B95951C
	v_mul_f32_e32 v203, v28, v203                              // 000000009768: 0B97971C
	v_mul_f32_e32 v204, v28, v204                              // 00000000976C: 0B99991C
	v_mul_f32_e32 v205, v28, v205                              // 000000009770: 0B9B9B1C
	v_mul_f32_e32 v206, v28, v206                              // 000000009774: 0B9D9D1C
	v_mul_f32_e32 v207, v28, v207                              // 000000009778: 0B9F9F1C
	v_mul_f32_e32 v208, v28, v208                              // 00000000977C: 0BA1A11C
	v_mul_f32_e32 v209, v28, v209                              // 000000009780: 0BA3A31C
	v_mul_f32_e32 v210, v28, v210                              // 000000009784: 0BA5A51C
	v_mul_f32_e32 v211, v28, v211                              // 000000009788: 0BA7A71C
	v_mul_f32_e32 v212, v28, v212                              // 00000000978C: 0BA9A91C
	v_mul_f32_e32 v213, v28, v213                              // 000000009790: 0BABAB1C
	v_mul_f32_e32 v214, v28, v214                              // 000000009794: 0BADAD1C
	v_mul_f32_e32 v215, v28, v215                              // 000000009798: 0BAFAF1C
	v_mul_f32_e32 v216, v28, v216                              // 00000000979C: 0BB1B11C
	v_mul_f32_e32 v217, v28, v217                              // 0000000097A0: 0BB3B31C
	v_mul_f32_e32 v218, v28, v218                              // 0000000097A4: 0BB5B51C
	v_mul_f32_e32 v219, v28, v219                              // 0000000097A8: 0BB7B71C
	v_mul_f32_e32 v220, v28, v220                              // 0000000097AC: 0BB9B91C
	v_mul_f32_e32 v221, v28, v221                              // 0000000097B0: 0BBBBB1C
	v_mul_f32_e32 v222, v28, v222                              // 0000000097B4: 0BBDBD1C
	v_mul_f32_e32 v223, v28, v223                              // 0000000097B8: 0BBFBF1C
	v_accvgpr_read_b32 v29, a144                               // 0000000097BC: D3D8401D 18000190
	v_mul_f32_e32 v29, v28, v29                                // 0000000097C4: 0A3A3B1C
	v_accvgpr_write_b32 a144, v29                              // 0000000097C8: D3D94090 1800011D
	v_accvgpr_read_b32 v29, a145                               // 0000000097D0: D3D8401D 18000191
	v_mul_f32_e32 v29, v28, v29                                // 0000000097D8: 0A3A3B1C
	v_accvgpr_write_b32 a145, v29                              // 0000000097DC: D3D94091 1800011D
	v_accvgpr_read_b32 v29, a146                               // 0000000097E4: D3D8401D 18000192
	v_mul_f32_e32 v29, v28, v29                                // 0000000097EC: 0A3A3B1C
	v_accvgpr_write_b32 a146, v29                              // 0000000097F0: D3D94092 1800011D
	v_accvgpr_read_b32 v29, a147                               // 0000000097F8: D3D8401D 18000193
	v_mul_f32_e32 v29, v28, v29                                // 000000009800: 0A3A3B1C
	v_accvgpr_write_b32 a147, v29                              // 000000009804: D3D94093 1800011D
	v_accvgpr_read_b32 v29, a148                               // 00000000980C: D3D8401D 18000194
	v_mul_f32_e32 v29, v28, v29                                // 000000009814: 0A3A3B1C
	v_accvgpr_write_b32 a148, v29                              // 000000009818: D3D94094 1800011D
	v_accvgpr_read_b32 v29, a149                               // 000000009820: D3D8401D 18000195
	v_mul_f32_e32 v29, v28, v29                                // 000000009828: 0A3A3B1C
	v_accvgpr_write_b32 a149, v29                              // 00000000982C: D3D94095 1800011D
	v_accvgpr_read_b32 v29, a150                               // 000000009834: D3D8401D 18000196
	v_mul_f32_e32 v29, v28, v29                                // 00000000983C: 0A3A3B1C
	v_accvgpr_write_b32 a150, v29                              // 000000009840: D3D94096 1800011D
	v_accvgpr_read_b32 v29, a151                               // 000000009848: D3D8401D 18000197
	v_mul_f32_e32 v29, v28, v29                                // 000000009850: 0A3A3B1C
	v_accvgpr_write_b32 a151, v29                              // 000000009854: D3D94097 1800011D
	v_accvgpr_read_b32 v29, a152                               // 00000000985C: D3D8401D 18000198
	v_mul_f32_e32 v29, v28, v29                                // 000000009864: 0A3A3B1C
	v_accvgpr_write_b32 a152, v29                              // 000000009868: D3D94098 1800011D
	v_accvgpr_read_b32 v29, a153                               // 000000009870: D3D8401D 18000199
	v_mul_f32_e32 v29, v28, v29                                // 000000009878: 0A3A3B1C
	v_accvgpr_write_b32 a153, v29                              // 00000000987C: D3D94099 1800011D
	v_accvgpr_read_b32 v29, a154                               // 000000009884: D3D8401D 1800019A
	v_mul_f32_e32 v29, v28, v29                                // 00000000988C: 0A3A3B1C
	v_accvgpr_write_b32 a154, v29                              // 000000009890: D3D9409A 1800011D
	v_accvgpr_read_b32 v29, a155                               // 000000009898: D3D8401D 1800019B
	v_mul_f32_e32 v29, v28, v29                                // 0000000098A0: 0A3A3B1C
	v_accvgpr_write_b32 a155, v29                              // 0000000098A4: D3D9409B 1800011D
	v_accvgpr_read_b32 v29, a156                               // 0000000098AC: D3D8401D 1800019C
	v_mul_f32_e32 v29, v28, v29                                // 0000000098B4: 0A3A3B1C
	v_accvgpr_write_b32 a156, v29                              // 0000000098B8: D3D9409C 1800011D
	v_accvgpr_read_b32 v29, a157                               // 0000000098C0: D3D8401D 1800019D
	v_mul_f32_e32 v29, v28, v29                                // 0000000098C8: 0A3A3B1C
	v_accvgpr_write_b32 a157, v29                              // 0000000098CC: D3D9409D 1800011D
	v_accvgpr_read_b32 v29, a158                               // 0000000098D4: D3D8401D 1800019E
	v_mul_f32_e32 v29, v28, v29                                // 0000000098DC: 0A3A3B1C
	v_accvgpr_write_b32 a158, v29                              // 0000000098E0: D3D9409E 1800011D
	v_accvgpr_read_b32 v29, a159                               // 0000000098E8: D3D8401D 1800019F
	v_mul_f32_e32 v29, v28, v29                                // 0000000098F0: 0A3A3B1C
	v_accvgpr_write_b32 a159, v29                              // 0000000098F4: D3D9409F 1800011D
	v_accvgpr_read_b32 v29, a160                               // 0000000098FC: D3D8401D 180001A0
	v_mul_f32_e32 v29, v28, v29                                // 000000009904: 0A3A3B1C
	v_accvgpr_write_b32 a160, v29                              // 000000009908: D3D940A0 1800011D
	v_accvgpr_read_b32 v29, a161                               // 000000009910: D3D8401D 180001A1
	v_mul_f32_e32 v29, v28, v29                                // 000000009918: 0A3A3B1C
	v_accvgpr_write_b32 a161, v29                              // 00000000991C: D3D940A1 1800011D
	v_accvgpr_read_b32 v29, a162                               // 000000009924: D3D8401D 180001A2
	v_mul_f32_e32 v29, v28, v29                                // 00000000992C: 0A3A3B1C
	v_accvgpr_write_b32 a162, v29                              // 000000009930: D3D940A2 1800011D
	v_accvgpr_read_b32 v29, a163                               // 000000009938: D3D8401D 180001A3
	v_mul_f32_e32 v29, v28, v29                                // 000000009940: 0A3A3B1C
	v_accvgpr_write_b32 a163, v29                              // 000000009944: D3D940A3 1800011D
	v_accvgpr_read_b32 v29, a164                               // 00000000994C: D3D8401D 180001A4
	v_mul_f32_e32 v29, v28, v29                                // 000000009954: 0A3A3B1C
	v_accvgpr_write_b32 a164, v29                              // 000000009958: D3D940A4 1800011D
	v_accvgpr_read_b32 v29, a165                               // 000000009960: D3D8401D 180001A5
	v_mul_f32_e32 v29, v28, v29                                // 000000009968: 0A3A3B1C
	v_accvgpr_write_b32 a165, v29                              // 00000000996C: D3D940A5 1800011D
	v_accvgpr_read_b32 v29, a166                               // 000000009974: D3D8401D 180001A6
	v_mul_f32_e32 v29, v28, v29                                // 00000000997C: 0A3A3B1C
	v_accvgpr_write_b32 a166, v29                              // 000000009980: D3D940A6 1800011D
	v_accvgpr_read_b32 v29, a167                               // 000000009988: D3D8401D 180001A7
	v_mul_f32_e32 v29, v28, v29                                // 000000009990: 0A3A3B1C
	v_accvgpr_write_b32 a167, v29                              // 000000009994: D3D940A7 1800011D
	v_accvgpr_read_b32 v29, a168                               // 00000000999C: D3D8401D 180001A8
	v_mul_f32_e32 v29, v28, v29                                // 0000000099A4: 0A3A3B1C
	v_accvgpr_write_b32 a168, v29                              // 0000000099A8: D3D940A8 1800011D
	v_accvgpr_read_b32 v29, a169                               // 0000000099B0: D3D8401D 180001A9
	v_mul_f32_e32 v29, v28, v29                                // 0000000099B8: 0A3A3B1C
	v_accvgpr_write_b32 a169, v29                              // 0000000099BC: D3D940A9 1800011D
	v_accvgpr_read_b32 v29, a170                               // 0000000099C4: D3D8401D 180001AA
	v_mul_f32_e32 v29, v28, v29                                // 0000000099CC: 0A3A3B1C
	v_accvgpr_write_b32 a170, v29                              // 0000000099D0: D3D940AA 1800011D
	v_accvgpr_read_b32 v29, a171                               // 0000000099D8: D3D8401D 180001AB
	v_mul_f32_e32 v29, v28, v29                                // 0000000099E0: 0A3A3B1C
	v_accvgpr_write_b32 a171, v29                              // 0000000099E4: D3D940AB 1800011D
	v_accvgpr_read_b32 v29, a172                               // 0000000099EC: D3D8401D 180001AC
	v_mul_f32_e32 v29, v28, v29                                // 0000000099F4: 0A3A3B1C
	v_accvgpr_write_b32 a172, v29                              // 0000000099F8: D3D940AC 1800011D
	v_accvgpr_read_b32 v29, a173                               // 000000009A00: D3D8401D 180001AD
	v_mul_f32_e32 v29, v28, v29                                // 000000009A08: 0A3A3B1C
	v_accvgpr_write_b32 a173, v29                              // 000000009A0C: D3D940AD 1800011D
	v_accvgpr_read_b32 v29, a174                               // 000000009A14: D3D8401D 180001AE
	v_mul_f32_e32 v29, v28, v29                                // 000000009A1C: 0A3A3B1C
	v_accvgpr_write_b32 a174, v29                              // 000000009A20: D3D940AE 1800011D
	v_accvgpr_read_b32 v29, a175                               // 000000009A28: D3D8401D 180001AF
	v_mul_f32_e32 v29, v28, v29                                // 000000009A30: 0A3A3B1C
	v_accvgpr_write_b32 a175, v29                              // 000000009A34: D3D940AF 1800011D
	v_accvgpr_read_b32 v29, a176                               // 000000009A3C: D3D8401D 180001B0
	v_mul_f32_e32 v29, v28, v29                                // 000000009A44: 0A3A3B1C
	v_accvgpr_write_b32 a176, v29                              // 000000009A48: D3D940B0 1800011D
	v_accvgpr_read_b32 v29, a177                               // 000000009A50: D3D8401D 180001B1
	v_mul_f32_e32 v29, v28, v29                                // 000000009A58: 0A3A3B1C
	v_accvgpr_write_b32 a177, v29                              // 000000009A5C: D3D940B1 1800011D
	v_accvgpr_read_b32 v29, a178                               // 000000009A64: D3D8401D 180001B2
	v_mul_f32_e32 v29, v28, v29                                // 000000009A6C: 0A3A3B1C
	v_accvgpr_write_b32 a178, v29                              // 000000009A70: D3D940B2 1800011D
	v_accvgpr_read_b32 v29, a179                               // 000000009A78: D3D8401D 180001B3
	v_mul_f32_e32 v29, v28, v29                                // 000000009A80: 0A3A3B1C
	v_accvgpr_write_b32 a179, v29                              // 000000009A84: D3D940B3 1800011D
	v_accvgpr_read_b32 v29, a180                               // 000000009A8C: D3D8401D 180001B4
	v_mul_f32_e32 v29, v28, v29                                // 000000009A94: 0A3A3B1C
	v_accvgpr_write_b32 a180, v29                              // 000000009A98: D3D940B4 1800011D
	v_accvgpr_read_b32 v29, a181                               // 000000009AA0: D3D8401D 180001B5
	v_mul_f32_e32 v29, v28, v29                                // 000000009AA8: 0A3A3B1C
	v_accvgpr_write_b32 a181, v29                              // 000000009AAC: D3D940B5 1800011D
	v_accvgpr_read_b32 v29, a182                               // 000000009AB4: D3D8401D 180001B6
	v_mul_f32_e32 v29, v28, v29                                // 000000009ABC: 0A3A3B1C
	v_accvgpr_write_b32 a182, v29                              // 000000009AC0: D3D940B6 1800011D
	v_accvgpr_read_b32 v29, a183                               // 000000009AC8: D3D8401D 180001B7
	v_mul_f32_e32 v29, v28, v29                                // 000000009AD0: 0A3A3B1C
	v_accvgpr_write_b32 a183, v29                              // 000000009AD4: D3D940B7 1800011D
	v_accvgpr_read_b32 v29, a184                               // 000000009ADC: D3D8401D 180001B8
	v_mul_f32_e32 v29, v28, v29                                // 000000009AE4: 0A3A3B1C
	v_accvgpr_write_b32 a184, v29                              // 000000009AE8: D3D940B8 1800011D
	v_accvgpr_read_b32 v29, a185                               // 000000009AF0: D3D8401D 180001B9
	v_mul_f32_e32 v29, v28, v29                                // 000000009AF8: 0A3A3B1C
	v_accvgpr_write_b32 a185, v29                              // 000000009AFC: D3D940B9 1800011D
	v_accvgpr_read_b32 v29, a186                               // 000000009B04: D3D8401D 180001BA
	v_mul_f32_e32 v29, v28, v29                                // 000000009B0C: 0A3A3B1C
	v_accvgpr_write_b32 a186, v29                              // 000000009B10: D3D940BA 1800011D
	v_accvgpr_read_b32 v29, a187                               // 000000009B18: D3D8401D 180001BB
	v_mul_f32_e32 v29, v28, v29                                // 000000009B20: 0A3A3B1C
	v_accvgpr_write_b32 a187, v29                              // 000000009B24: D3D940BB 1800011D
	v_accvgpr_read_b32 v29, a188                               // 000000009B2C: D3D8401D 180001BC
	v_mul_f32_e32 v29, v28, v29                                // 000000009B34: 0A3A3B1C
	v_accvgpr_write_b32 a188, v29                              // 000000009B38: D3D940BC 1800011D
	v_accvgpr_read_b32 v29, a189                               // 000000009B40: D3D8401D 180001BD
	v_mul_f32_e32 v29, v28, v29                                // 000000009B48: 0A3A3B1C
	v_accvgpr_write_b32 a189, v29                              // 000000009B4C: D3D940BD 1800011D
	v_accvgpr_read_b32 v29, a190                               // 000000009B54: D3D8401D 180001BE
	v_mul_f32_e32 v29, v28, v29                                // 000000009B5C: 0A3A3B1C
	v_accvgpr_write_b32 a190, v29                              // 000000009B60: D3D940BE 1800011D
	v_accvgpr_read_b32 v29, a191                               // 000000009B68: D3D8401D 180001BF
	v_mul_f32_e32 v29, v28, v29                                // 000000009B70: 0A3A3B1C
	v_accvgpr_write_b32 a191, v29                              // 000000009B74: D3D940BF 1800011D
	v_accvgpr_read_b32 v29, a192                               // 000000009B7C: D3D8401D 180001C0
	v_mul_f32_e32 v29, v28, v29                                // 000000009B84: 0A3A3B1C
	v_accvgpr_write_b32 a192, v29                              // 000000009B88: D3D940C0 1800011D
	v_accvgpr_read_b32 v29, a193                               // 000000009B90: D3D8401D 180001C1
	v_mul_f32_e32 v29, v28, v29                                // 000000009B98: 0A3A3B1C
	v_accvgpr_write_b32 a193, v29                              // 000000009B9C: D3D940C1 1800011D
	v_accvgpr_read_b32 v29, a194                               // 000000009BA4: D3D8401D 180001C2
	v_mul_f32_e32 v29, v28, v29                                // 000000009BAC: 0A3A3B1C
	v_accvgpr_write_b32 a194, v29                              // 000000009BB0: D3D940C2 1800011D
	v_accvgpr_read_b32 v29, a195                               // 000000009BB8: D3D8401D 180001C3
	v_mul_f32_e32 v29, v28, v29                                // 000000009BC0: 0A3A3B1C
	v_accvgpr_write_b32 a195, v29                              // 000000009BC4: D3D940C3 1800011D
	v_accvgpr_read_b32 v29, a196                               // 000000009BCC: D3D8401D 180001C4
	v_mul_f32_e32 v29, v28, v29                                // 000000009BD4: 0A3A3B1C
	v_accvgpr_write_b32 a196, v29                              // 000000009BD8: D3D940C4 1800011D
	v_accvgpr_read_b32 v29, a197                               // 000000009BE0: D3D8401D 180001C5
	v_mul_f32_e32 v29, v28, v29                                // 000000009BE8: 0A3A3B1C
	v_accvgpr_write_b32 a197, v29                              // 000000009BEC: D3D940C5 1800011D
	v_accvgpr_read_b32 v29, a198                               // 000000009BF4: D3D8401D 180001C6
	v_mul_f32_e32 v29, v28, v29                                // 000000009BFC: 0A3A3B1C
	v_accvgpr_write_b32 a198, v29                              // 000000009C00: D3D940C6 1800011D
	v_accvgpr_read_b32 v29, a199                               // 000000009C08: D3D8401D 180001C7
	v_mul_f32_e32 v29, v28, v29                                // 000000009C10: 0A3A3B1C
	v_accvgpr_write_b32 a199, v29                              // 000000009C14: D3D940C7 1800011D
	v_accvgpr_read_b32 v29, a200                               // 000000009C1C: D3D8401D 180001C8
	v_mul_f32_e32 v29, v28, v29                                // 000000009C24: 0A3A3B1C
	v_accvgpr_write_b32 a200, v29                              // 000000009C28: D3D940C8 1800011D
	v_accvgpr_read_b32 v29, a201                               // 000000009C30: D3D8401D 180001C9
	v_mul_f32_e32 v29, v28, v29                                // 000000009C38: 0A3A3B1C
	v_accvgpr_write_b32 a201, v29                              // 000000009C3C: D3D940C9 1800011D
	v_accvgpr_read_b32 v29, a202                               // 000000009C44: D3D8401D 180001CA
	v_mul_f32_e32 v29, v28, v29                                // 000000009C4C: 0A3A3B1C
	v_accvgpr_write_b32 a202, v29                              // 000000009C50: D3D940CA 1800011D
	v_accvgpr_read_b32 v29, a203                               // 000000009C58: D3D8401D 180001CB
	v_mul_f32_e32 v29, v28, v29                                // 000000009C60: 0A3A3B1C
	v_accvgpr_write_b32 a203, v29                              // 000000009C64: D3D940CB 1800011D
	v_accvgpr_read_b32 v29, a204                               // 000000009C6C: D3D8401D 180001CC
	v_mul_f32_e32 v29, v28, v29                                // 000000009C74: 0A3A3B1C
	v_accvgpr_write_b32 a204, v29                              // 000000009C78: D3D940CC 1800011D
	v_accvgpr_read_b32 v29, a205                               // 000000009C80: D3D8401D 180001CD
	v_mul_f32_e32 v29, v28, v29                                // 000000009C88: 0A3A3B1C
	v_accvgpr_write_b32 a205, v29                              // 000000009C8C: D3D940CD 1800011D
	v_accvgpr_read_b32 v29, a206                               // 000000009C94: D3D8401D 180001CE
	v_mul_f32_e32 v29, v28, v29                                // 000000009C9C: 0A3A3B1C
	v_accvgpr_write_b32 a206, v29                              // 000000009CA0: D3D940CE 1800011D
	v_accvgpr_read_b32 v29, a207                               // 000000009CA8: D3D8401D 180001CF
	v_mul_f32_e32 v29, v28, v29                                // 000000009CB0: 0A3A3B1C
	v_accvgpr_write_b32 a207, v29                              // 000000009CB4: D3D940CF 1800011D
	v_accvgpr_read_b32 v29, a208                               // 000000009CBC: D3D8401D 180001D0
	v_mul_f32_e32 v29, v28, v29                                // 000000009CC4: 0A3A3B1C
	v_accvgpr_write_b32 a208, v29                              // 000000009CC8: D3D940D0 1800011D
	v_accvgpr_read_b32 v29, a209                               // 000000009CD0: D3D8401D 180001D1
	v_mul_f32_e32 v29, v28, v29                                // 000000009CD8: 0A3A3B1C
	v_accvgpr_write_b32 a209, v29                              // 000000009CDC: D3D940D1 1800011D
	v_accvgpr_read_b32 v29, a210                               // 000000009CE4: D3D8401D 180001D2
	v_mul_f32_e32 v29, v28, v29                                // 000000009CEC: 0A3A3B1C
	v_accvgpr_write_b32 a210, v29                              // 000000009CF0: D3D940D2 1800011D
	v_accvgpr_read_b32 v29, a211                               // 000000009CF8: D3D8401D 180001D3
	v_mul_f32_e32 v29, v28, v29                                // 000000009D00: 0A3A3B1C
	v_accvgpr_write_b32 a211, v29                              // 000000009D04: D3D940D3 1800011D
	v_accvgpr_read_b32 v29, a212                               // 000000009D0C: D3D8401D 180001D4
	v_mul_f32_e32 v29, v28, v29                                // 000000009D14: 0A3A3B1C
	v_accvgpr_write_b32 a212, v29                              // 000000009D18: D3D940D4 1800011D
	v_accvgpr_read_b32 v29, a213                               // 000000009D20: D3D8401D 180001D5
	v_mul_f32_e32 v29, v28, v29                                // 000000009D28: 0A3A3B1C
	v_accvgpr_write_b32 a213, v29                              // 000000009D2C: D3D940D5 1800011D
	v_accvgpr_read_b32 v29, a214                               // 000000009D34: D3D8401D 180001D6
	v_mul_f32_e32 v29, v28, v29                                // 000000009D3C: 0A3A3B1C
	v_accvgpr_write_b32 a214, v29                              // 000000009D40: D3D940D6 1800011D
	v_accvgpr_read_b32 v29, a215                               // 000000009D48: D3D8401D 180001D7
	v_mul_f32_e32 v29, v28, v29                                // 000000009D50: 0A3A3B1C
	v_accvgpr_write_b32 a215, v29                              // 000000009D54: D3D940D7 1800011D
	v_accvgpr_read_b32 v29, a216                               // 000000009D5C: D3D8401D 180001D8
	v_mul_f32_e32 v29, v28, v29                                // 000000009D64: 0A3A3B1C
	v_accvgpr_write_b32 a216, v29                              // 000000009D68: D3D940D8 1800011D
	v_accvgpr_read_b32 v29, a217                               // 000000009D70: D3D8401D 180001D9
	v_mul_f32_e32 v29, v28, v29                                // 000000009D78: 0A3A3B1C
	v_accvgpr_write_b32 a217, v29                              // 000000009D7C: D3D940D9 1800011D
	v_accvgpr_read_b32 v29, a218                               // 000000009D84: D3D8401D 180001DA
	v_mul_f32_e32 v29, v28, v29                                // 000000009D8C: 0A3A3B1C
	v_accvgpr_write_b32 a218, v29                              // 000000009D90: D3D940DA 1800011D
	v_accvgpr_read_b32 v29, a219                               // 000000009D98: D3D8401D 180001DB
	v_mul_f32_e32 v29, v28, v29                                // 000000009DA0: 0A3A3B1C
	v_accvgpr_write_b32 a219, v29                              // 000000009DA4: D3D940DB 1800011D
	v_accvgpr_read_b32 v29, a220                               // 000000009DAC: D3D8401D 180001DC
	v_mul_f32_e32 v29, v28, v29                                // 000000009DB4: 0A3A3B1C
	v_accvgpr_write_b32 a220, v29                              // 000000009DB8: D3D940DC 1800011D
	v_accvgpr_read_b32 v29, a221                               // 000000009DC0: D3D8401D 180001DD
	v_mul_f32_e32 v29, v28, v29                                // 000000009DC8: 0A3A3B1C
	v_accvgpr_write_b32 a221, v29                              // 000000009DCC: D3D940DD 1800011D
	v_accvgpr_read_b32 v29, a222                               // 000000009DD4: D3D8401D 180001DE
	v_mul_f32_e32 v29, v28, v29                                // 000000009DDC: 0A3A3B1C
	v_accvgpr_write_b32 a222, v29                              // 000000009DE0: D3D940DE 1800011D
	v_accvgpr_read_b32 v29, a223                               // 000000009DE8: D3D8401D 180001DF
	v_mul_f32_e32 v29, v28, v29                                // 000000009DF0: 0A3A3B1C
	v_accvgpr_write_b32 a223, v29                              // 000000009DF4: D3D940DF 1800011D
	v_accvgpr_read_b32 v29, a224                               // 000000009DFC: D3D8401D 180001E0
	v_mul_f32_e32 v29, v28, v29                                // 000000009E04: 0A3A3B1C
	v_accvgpr_write_b32 a224, v29                              // 000000009E08: D3D940E0 1800011D
	v_accvgpr_read_b32 v29, a225                               // 000000009E10: D3D8401D 180001E1
	v_mul_f32_e32 v29, v28, v29                                // 000000009E18: 0A3A3B1C
	v_accvgpr_write_b32 a225, v29                              // 000000009E1C: D3D940E1 1800011D
	v_accvgpr_read_b32 v29, a226                               // 000000009E24: D3D8401D 180001E2
	v_mul_f32_e32 v29, v28, v29                                // 000000009E2C: 0A3A3B1C
	v_accvgpr_write_b32 a226, v29                              // 000000009E30: D3D940E2 1800011D
	v_accvgpr_read_b32 v29, a227                               // 000000009E38: D3D8401D 180001E3
	v_mul_f32_e32 v29, v28, v29                                // 000000009E40: 0A3A3B1C
	v_accvgpr_write_b32 a227, v29                              // 000000009E44: D3D940E3 1800011D
	v_accvgpr_read_b32 v29, a228                               // 000000009E4C: D3D8401D 180001E4
	v_mul_f32_e32 v29, v28, v29                                // 000000009E54: 0A3A3B1C
	v_accvgpr_write_b32 a228, v29                              // 000000009E58: D3D940E4 1800011D
	v_accvgpr_read_b32 v29, a229                               // 000000009E60: D3D8401D 180001E5
	v_mul_f32_e32 v29, v28, v29                                // 000000009E68: 0A3A3B1C
	v_accvgpr_write_b32 a229, v29                              // 000000009E6C: D3D940E5 1800011D
	v_accvgpr_read_b32 v29, a230                               // 000000009E74: D3D8401D 180001E6
	v_mul_f32_e32 v29, v28, v29                                // 000000009E7C: 0A3A3B1C
	v_accvgpr_write_b32 a230, v29                              // 000000009E80: D3D940E6 1800011D
	v_accvgpr_read_b32 v29, a231                               // 000000009E88: D3D8401D 180001E7
	v_mul_f32_e32 v29, v28, v29                                // 000000009E90: 0A3A3B1C
	v_accvgpr_write_b32 a231, v29                              // 000000009E94: D3D940E7 1800011D
	v_accvgpr_read_b32 v29, a232                               // 000000009E9C: D3D8401D 180001E8
	v_mul_f32_e32 v29, v28, v29                                // 000000009EA4: 0A3A3B1C
	v_accvgpr_write_b32 a232, v29                              // 000000009EA8: D3D940E8 1800011D
	v_accvgpr_read_b32 v29, a233                               // 000000009EB0: D3D8401D 180001E9
	v_mul_f32_e32 v29, v28, v29                                // 000000009EB8: 0A3A3B1C
	v_accvgpr_write_b32 a233, v29                              // 000000009EBC: D3D940E9 1800011D
	v_accvgpr_read_b32 v29, a234                               // 000000009EC4: D3D8401D 180001EA
	v_mul_f32_e32 v29, v28, v29                                // 000000009ECC: 0A3A3B1C
	v_accvgpr_write_b32 a234, v29                              // 000000009ED0: D3D940EA 1800011D
	v_accvgpr_read_b32 v29, a235                               // 000000009ED8: D3D8401D 180001EB
	v_mul_f32_e32 v29, v28, v29                                // 000000009EE0: 0A3A3B1C
	v_accvgpr_write_b32 a235, v29                              // 000000009EE4: D3D940EB 1800011D
	v_accvgpr_read_b32 v29, a236                               // 000000009EEC: D3D8401D 180001EC
	v_mul_f32_e32 v29, v28, v29                                // 000000009EF4: 0A3A3B1C
	v_accvgpr_write_b32 a236, v29                              // 000000009EF8: D3D940EC 1800011D
	v_accvgpr_read_b32 v29, a237                               // 000000009F00: D3D8401D 180001ED
	v_mul_f32_e32 v29, v28, v29                                // 000000009F08: 0A3A3B1C
	v_accvgpr_write_b32 a237, v29                              // 000000009F0C: D3D940ED 1800011D
	v_accvgpr_read_b32 v29, a238                               // 000000009F14: D3D8401D 180001EE
	v_mul_f32_e32 v29, v28, v29                                // 000000009F1C: 0A3A3B1C
	v_accvgpr_write_b32 a238, v29                              // 000000009F20: D3D940EE 1800011D
	v_accvgpr_read_b32 v29, a239                               // 000000009F28: D3D8401D 180001EF
	v_mul_f32_e32 v29, v28, v29                                // 000000009F30: 0A3A3B1C
	v_accvgpr_write_b32 a239, v29                              // 000000009F34: D3D940EF 1800011D
	s_waitcnt lgkmcnt(0)                                       // 000000009F3C: BF8CC07F
	v_mfma_f32_32x32x64_f8f6f4 v[64:79], a[72:79], v[32:39], v[64:79]// 000000009F40: D3AE0040 0D024148
	ds_read_b64_tr_b8 a[72:73], v13 offset:4096                // 000000009F48: DBC41000 4800000D
	ds_read_b64_tr_b8 a[74:75], v14 offset:4096                // 000000009F50: DBC41000 4A00000E
	ds_read_b64_tr_b8 a[76:77], v13 offset:22528               // 000000009F58: DBC45800 4C00000D
	ds_read_b64_tr_b8 a[78:79], v14 offset:22528               // 000000009F60: DBC45800 4E00000E
	v_mfma_f32_32x32x64_f8f6f4 v[80:95], a[80:87], v[32:39], v[80:95]// 000000009F68: D3AE0050 0D424150
	ds_read_b64_tr_b8 a[80:81], v15 offset:4096                // 000000009F70: DBC41000 5000000F
	ds_read_b64_tr_b8 a[82:83], v16 offset:4096                // 000000009F78: DBC41000 52000010
	ds_read_b64_tr_b8 a[84:85], v15 offset:22528               // 000000009F80: DBC45800 5400000F
	ds_read_b64_tr_b8 a[86:87], v16 offset:22528               // 000000009F88: DBC45800 56000010
	v_mfma_f32_32x32x64_f8f6f4 v[96:111], a[88:95], v[32:39], v[96:111]// 000000009F90: D3AE0060 0D824158
	ds_read_b64_tr_b8 a[88:89], v13 offset:5120                // 000000009F98: DBC41400 5800000D
	ds_read_b64_tr_b8 a[90:91], v14 offset:5120                // 000000009FA0: DBC41400 5A00000E
	ds_read_b64_tr_b8 a[92:93], v13 offset:23552               // 000000009FA8: DBC45C00 5C00000D
	ds_read_b64_tr_b8 a[94:95], v14 offset:23552               // 000000009FB0: DBC45C00 5E00000E
	v_mfma_f32_32x32x64_f8f6f4 v[112:127], a[96:103], v[32:39], v[112:127]// 000000009FB8: D3AE0070 0DC24160
	ds_read_b64_tr_b8 a[96:97], v15 offset:5120                // 000000009FC0: DBC41400 6000000F
	ds_read_b64_tr_b8 a[98:99], v16 offset:5120                // 000000009FC8: DBC41400 62000010
	ds_read_b64_tr_b8 a[100:101], v15 offset:23552             // 000000009FD0: DBC45C00 6400000F
	ds_read_b64_tr_b8 a[102:103], v16 offset:23552             // 000000009FD8: DBC45C00 66000010
	v_mfma_f32_32x32x64_f8f6f4 v[128:143], a[104:111], v[32:39], v[128:143]// 000000009FE0: D3AE0080 0E024168
	ds_read_b64_tr_b8 a[104:105], v13 offset:6144              // 000000009FE8: DBC41800 6800000D
	ds_read_b64_tr_b8 a[106:107], v14 offset:6144              // 000000009FF0: DBC41800 6A00000E
	ds_read_b64_tr_b8 a[108:109], v13 offset:24576             // 000000009FF8: DBC46000 6C00000D
	ds_read_b64_tr_b8 a[110:111], v14 offset:24576             // 00000000A000: DBC46000 6E00000E
	v_mfma_f32_32x32x64_f8f6f4 v[144:159], a[112:119], v[32:39], v[144:159]// 00000000A008: D3AE0090 0E424170
	ds_read_b64_tr_b8 a[112:113], v15 offset:6144              // 00000000A010: DBC41800 7000000F
	ds_read_b64_tr_b8 a[114:115], v16 offset:6144              // 00000000A018: DBC41800 72000010
	ds_read_b64_tr_b8 a[116:117], v15 offset:24576             // 00000000A020: DBC46000 7400000F
	ds_read_b64_tr_b8 a[118:119], v16 offset:24576             // 00000000A028: DBC46000 76000010
	v_mfma_f32_32x32x64_f8f6f4 v[160:175], a[120:127], v[32:39], v[160:175]// 00000000A030: D3AE00A0 0E824178
	ds_read_b64_tr_b8 a[120:121], v13 offset:7168              // 00000000A038: DBC41C00 7800000D
	ds_read_b64_tr_b8 a[122:123], v14 offset:7168              // 00000000A040: DBC41C00 7A00000E
	ds_read_b64_tr_b8 a[124:125], v13 offset:25600             // 00000000A048: DBC46400 7C00000D
	ds_read_b64_tr_b8 a[126:127], v14 offset:25600             // 00000000A050: DBC46400 7E00000E
	v_mfma_f32_32x32x64_f8f6f4 v[176:191], a[128:135], v[32:39], v[176:191]// 00000000A058: D3AE00B0 0EC24180
	ds_read_b64_tr_b8 a[128:129], v15 offset:7168              // 00000000A060: DBC41C00 8000000F
	ds_read_b64_tr_b8 a[130:131], v16 offset:7168              // 00000000A068: DBC41C00 82000010
	ds_read_b64_tr_b8 a[132:133], v15 offset:25600             // 00000000A070: DBC46400 8400000F
	ds_read_b64_tr_b8 a[134:135], v16 offset:25600             // 00000000A078: DBC46400 86000010
	s_waitcnt lgkmcnt(0)                                       // 00000000A080: BF8CC07F
	v_mfma_f32_32x32x64_f8f6f4 v[192:207], a[72:79], v[32:39], v[192:207]// 00000000A084: D3AE00C0 0F024148
	v_mfma_f32_32x32x64_f8f6f4 v[208:223], a[80:87], v[32:39], v[208:223]// 00000000A08C: D3AE00D0 0F424150
	s_waitcnt vmcnt(10)                                        // 00000000A094: BF8C0F7A
	s_barrier                                                  // 00000000A098: BF8A0000
	ds_read_b128 a[72:75], v18                                 // 00000000A09C: DBFE0000 48000012
	ds_read_b128 a[76:79], v19                                 // 00000000A0A4: DBFE0000 4C000013
	v_mfma_f32_32x32x64_f8f6f4 a[144:159], a[88:95], v[32:39], a[144:159]// 00000000A0AC: D3AE8090 0E424158
	ds_read_b128 a[80:83], v18 offset:1024                     // 00000000A0B4: DBFE0400 50000012
	ds_read_b128 a[84:87], v19 offset:1024                     // 00000000A0BC: DBFE0400 54000013
	v_mfma_f32_32x32x64_f8f6f4 a[160:175], a[96:103], v[32:39], a[160:175]// 00000000A0C4: D3AE80A0 0E824160
	ds_read_b128 a[88:91], v18 offset:2048                     // 00000000A0CC: DBFE0800 58000012
	ds_read_b128 a[92:95], v19 offset:2048                     // 00000000A0D4: DBFE0800 5C000013
	v_mfma_f32_32x32x64_f8f6f4 a[176:191], a[104:111], v[32:39], a[176:191]// 00000000A0DC: D3AE80B0 0EC24168
	ds_read_b128 a[96:99], v18 offset:3072                     // 00000000A0E4: DBFE0C00 60000012
	ds_read_b128 a[100:103], v19 offset:3072                   // 00000000A0EC: DBFE0C00 64000013
	v_mfma_f32_32x32x64_f8f6f4 a[192:207], a[112:119], v[32:39], a[192:207]// 00000000A0F4: D3AE80C0 0F024170
	ds_read_b128 a[104:107], v18 offset:4096                   // 00000000A0FC: DBFE1000 68000012
	ds_read_b128 a[108:111], v19 offset:4096                   // 00000000A104: DBFE1000 6C000013
	v_mfma_f32_32x32x64_f8f6f4 a[208:223], a[120:127], v[32:39], a[208:223]// 00000000A10C: D3AE80D0 0F424178
	ds_read_b128 a[112:115], v18 offset:5120                   // 00000000A114: DBFE1400 70000012
	ds_read_b128 a[116:119], v19 offset:5120                   // 00000000A11C: DBFE1400 74000013
	v_mfma_f32_32x32x64_f8f6f4 a[224:239], a[128:135], v[32:39], a[224:239]// 00000000A124: D3AE80E0 0F824180
	ds_read_b128 a[120:123], v18 offset:6144                   // 00000000A12C: DBFE1800 78000012
	ds_read_b128 a[124:127], v19 offset:6144                   // 00000000A134: DBFE1800 7C000013
	ds_read_b128 a[128:131], v18 offset:7168                   // 00000000A13C: DBFE1C00 80000012
	ds_read_b128 a[132:135], v19 offset:7168                   // 00000000A144: DBFE1C00 84000013
	ds_read_b128 a[136:139], v18 offset:8192                   // 00000000A14C: DBFE2000 88000012
	ds_read_b128 a[140:143], v19 offset:8192                   // 00000000A154: DBFE2000 8C000013
	s_addk_i32 s70, 0x1                                        // 00000000A15C: B7460001
	s_cmp_lt_i32 s70, s71                                      // 00000000A160: BF044746
	s_cbranch_scc0 label_529C                                  // 00000000A164: BF84F50D
	s_waitcnt lgkmcnt(4)                                       // 00000000A168: BF8CC47F
	v_mfma_f32_32x32x64_f8f6f4 v[32:47], a[72:79], a[0:7], 0   // 00000000A16C: D3AE0020 1A020148
	v_mul_u32_u24_e64 v31, v25, s68                            // 00000000A174: D108001F 00008919
	v_add_u32_e32 v31, v31, v1                                 // 00000000A17C: 683E031F
	buffer_load_dword v24, v27, s[24:27], 0 offen              // 00000000A180: E0501000 8006181B
	v_mfma_f32_32x32x64_f8f6f4 v[32:47], a[80:87], a[8:15], v[32:47]// 00000000A188: D3AE0020 1C821150
	s_mov_b32 s56, 0x1d000                                     // 00000000A190: BEB800FF 0001D000
	s_mul_i32 s57, s7, 0x2400                                  // 00000000A198: 9239FF07 00002400
	s_add_u32 m0, s56, s57                                     // 00000000A1A0: 807C3938
	buffer_load_dwordx4 v31, s[20:23], 0 offen lds             // 00000000A1A4: E05D1000 8005001F
	s_add_i32 m0, m0, 0x3c0                                    // 00000000A1AC: 817CFF7C 000003C0
	v_mfma_f32_32x32x64_f8f6f4 v[32:47], a[88:95], a[16:23], v[32:47]// 00000000A1B4: D3AE0020 1C822158
	ds_read_b128 a[72:75], v18 offset:18432                    // 00000000A1BC: DBFE4800 48000012
	ds_read_b128 a[76:79], v19 offset:18432                    // 00000000A1C4: DBFE4800 4C000013
	v_mfma_f32_32x32x64_f8f6f4 v[32:47], a[96:103], a[24:31], v[32:47]// 00000000A1CC: D3AE0020 1C823160
	buffer_load_dwordx4 v31, s[20:23], 0 offen offset:64 lds   // 00000000A1D4: E05D1040 8005001F
	s_add_i32 m0, m0, 0x3c0                                    // 00000000A1DC: 817CFF7C 000003C0
	ds_read_b128 a[80:83], v18 offset:19456                    // 00000000A1E4: DBFE4C00 50000012
	ds_read_b128 a[84:87], v19 offset:19456                    // 00000000A1EC: DBFE4C00 54000013
	v_mfma_f32_32x32x64_f8f6f4 v[32:47], a[104:111], a[32:39], v[32:47]// 00000000A1F4: D3AE0020 1C824168
	ds_read_b128 a[88:91], v18 offset:20480                    // 00000000A1FC: DBFE5000 58000012
	ds_read_b128 a[92:95], v19 offset:20480                    // 00000000A204: DBFE5000 5C000013
	v_mfma_f32_32x32x64_f8f6f4 v[32:47], a[112:119], a[40:47], v[32:47]// 00000000A20C: D3AE0020 1C825170
	buffer_load_dwordx4 v31, s[20:23], 0 offen offset:128 lds  // 00000000A214: E05D1080 8005001F
	s_add_i32 m0, m0, 0x3c0                                    // 00000000A21C: 817CFF7C 000003C0
	ds_read_b128 a[96:99], v18 offset:21504                    // 00000000A224: DBFE5400 60000012
	ds_read_b128 a[100:103], v19 offset:21504                  // 00000000A22C: DBFE5400 64000013
	v_mfma_f32_32x32x64_f8f6f4 v[32:47], a[120:127], a[48:55], v[32:47]// 00000000A234: D3AE0020 1C826178
	ds_read_b128 a[104:107], v18 offset:22528                  // 00000000A23C: DBFE5800 68000012
	ds_read_b128 a[108:111], v19 offset:22528                  // 00000000A244: DBFE5800 6C000013
	v_mfma_f32_32x32x64_f8f6f4 v[32:47], a[128:135], a[56:63], v[32:47]// 00000000A24C: D3AE0020 1C827180
	buffer_load_dwordx4 v31, s[20:23], 0 offen offset:192 lds  // 00000000A254: E05D10C0 8005001F
	s_add_i32 m0, m0, 0x3c0                                    // 00000000A25C: 817CFF7C 000003C0
	ds_read_b128 a[112:115], v18 offset:23552                  // 00000000A264: DBFE5C00 70000012
	ds_read_b128 a[116:119], v19 offset:23552                  // 00000000A26C: DBFE5C00 74000013
	v_mfma_f32_32x32x64_f8f6f4 v[32:47], a[136:143], a[64:71], v[32:47]// 00000000A274: D3AE0020 1C828188
	ds_read_b128 a[120:123], v18 offset:24576                  // 00000000A27C: DBFE6000 78000012
	ds_read_b128 a[124:127], v19 offset:24576                  // 00000000A284: DBFE6000 7C000013
	buffer_load_dwordx4 v31, s[20:23], 0 offen offset:256 lds  // 00000000A28C: E05D1100 8005001F
	s_add_i32 m0, m0, 0x3c0                                    // 00000000A294: 817CFF7C 000003C0
	buffer_load_dwordx4 v31, s[20:23], 0 offen offset:320 lds  // 00000000A29C: E05D1140 8005001F
	s_add_i32 m0, m0, 0x3c0                                    // 00000000A2A4: 817CFF7C 000003C0
	buffer_load_dwordx4 v31, s[20:23], 0 offen offset:384 lds  // 00000000A2AC: E05D1180 8005001F
	s_add_i32 m0, m0, 0x3c0                                    // 00000000A2B4: 817CFF7C 000003C0
	buffer_load_dwordx4 v31, s[20:23], 0 offen offset:448 lds  // 00000000A2BC: E05D11C0 8005001F
	s_add_i32 m0, m0, 0x3c0                                    // 00000000A2C4: 817CFF7C 000003C0
	buffer_load_dwordx4 v31, s[20:23], 0 offen offset:512 lds  // 00000000A2CC: E05D1200 8005001F
	s_add_i32 m0, m0, 0x3c0                                    // 00000000A2D4: 817CFF7C 000003C0
	ds_read_b128 a[128:131], v18 offset:25600                  // 00000000A2DC: DBFE6400 80000012
	ds_read_b128 a[132:135], v19 offset:25600                  // 00000000A2E4: DBFE6400 84000013
	ds_read_b128 a[136:139], v18 offset:26624                  // 00000000A2EC: DBFE6800 88000012
	ds_read_b128 a[140:143], v19 offset:26624                  // 00000000A2F4: DBFE6800 8C000013
	v_add_u32_e32 v27, s73, v27                                // 00000000A2FC: 68363649
	s_waitcnt lgkmcnt(4)                                       // 00000000A300: BF8CC47F
	v_mfma_f32_32x32x64_f8f6f4 v[48:63], a[72:79], a[0:7], 0   // 00000000A304: D3AE0030 1A020148
	v_mfma_f32_32x32x64_f8f6f4 v[48:63], a[80:87], a[8:15], v[48:63]// 00000000A30C: D3AE0030 1CC21150
	v_mfma_f32_32x32x64_f8f6f4 v[48:63], a[88:95], a[16:23], v[48:63]// 00000000A314: D3AE0030 1CC22158
	ds_read_b64_tr_b8 a[72:73], v5                             // 00000000A31C: DBC40000 48000005
	ds_read_b64_tr_b8 a[74:75], v6                             // 00000000A324: DBC40000 4A000006
	ds_read_b64_tr_b8 a[76:77], v5 offset:18432                // 00000000A32C: DBC44800 4C000005
	ds_read_b64_tr_b8 a[78:79], v6 offset:18432                // 00000000A334: DBC44800 4E000006
	v_mfma_f32_32x32x64_f8f6f4 v[48:63], a[96:103], a[24:31], v[48:63]// 00000000A33C: D3AE0030 1CC23160
	ds_read_b64_tr_b8 a[80:81], v7                             // 00000000A344: DBC40000 50000007
	ds_read_b64_tr_b8 a[82:83], v8                             // 00000000A34C: DBC40000 52000008
	ds_read_b64_tr_b8 a[84:85], v7 offset:18432                // 00000000A354: DBC44800 54000007
	ds_read_b64_tr_b8 a[86:87], v8 offset:18432                // 00000000A35C: DBC44800 56000008
	v_mfma_f32_32x32x64_f8f6f4 v[48:63], a[104:111], a[32:39], v[48:63]// 00000000A364: D3AE0030 1CC24168
	ds_read_b64_tr_b8 a[88:89], v5 offset:1024                 // 00000000A36C: DBC40400 58000005
	ds_read_b64_tr_b8 a[90:91], v6 offset:1024                 // 00000000A374: DBC40400 5A000006
	ds_read_b64_tr_b8 a[92:93], v5 offset:19456                // 00000000A37C: DBC44C00 5C000005
	ds_read_b64_tr_b8 a[94:95], v6 offset:19456                // 00000000A384: DBC44C00 5E000006
	v_mfma_f32_32x32x64_f8f6f4 v[48:63], a[112:119], a[40:47], v[48:63]// 00000000A38C: D3AE0030 1CC25170
	ds_read_b64_tr_b8 a[96:97], v7 offset:1024                 // 00000000A394: DBC40400 60000007
	ds_read_b64_tr_b8 a[98:99], v8 offset:1024                 // 00000000A39C: DBC40400 62000008
	ds_read_b64_tr_b8 a[100:101], v7 offset:19456              // 00000000A3A4: DBC44C00 64000007
	ds_read_b64_tr_b8 a[102:103], v8 offset:19456              // 00000000A3AC: DBC44C00 66000008
	v_mfma_f32_32x32x64_f8f6f4 v[48:63], a[120:127], a[48:55], v[48:63]// 00000000A3B4: D3AE0030 1CC26178
	ds_read_b64_tr_b8 a[104:105], v5 offset:2048               // 00000000A3BC: DBC40800 68000005
	ds_read_b64_tr_b8 a[106:107], v6 offset:2048               // 00000000A3C4: DBC40800 6A000006
	ds_read_b64_tr_b8 a[108:109], v5 offset:20480              // 00000000A3CC: DBC45000 6C000005
	ds_read_b64_tr_b8 a[110:111], v6 offset:20480              // 00000000A3D4: DBC45000 6E000006
	v_mfma_f32_32x32x64_f8f6f4 v[48:63], a[128:135], a[56:63], v[48:63]// 00000000A3DC: D3AE0030 1CC27180
	ds_read_b64_tr_b8 a[112:113], v7 offset:2048               // 00000000A3E4: DBC40800 70000007
	ds_read_b64_tr_b8 a[114:115], v8 offset:2048               // 00000000A3EC: DBC40800 72000008
	ds_read_b64_tr_b8 a[116:117], v7 offset:20480              // 00000000A3F4: DBC45000 74000007
	ds_read_b64_tr_b8 a[118:119], v8 offset:20480              // 00000000A3FC: DBC45000 76000008
	v_mfma_f32_32x32x64_f8f6f4 v[48:63], a[136:143], a[64:71], v[48:63]// 00000000A404: D3AE0030 1CC28188
	ds_read_b64_tr_b8 a[120:121], v5 offset:3072               // 00000000A40C: DBC40C00 78000005
	ds_read_b64_tr_b8 a[122:123], v6 offset:3072               // 00000000A414: DBC40C00 7A000006
	ds_read_b64_tr_b8 a[124:125], v5 offset:21504              // 00000000A41C: DBC45400 7C000005
	ds_read_b64_tr_b8 a[126:127], v6 offset:21504              // 00000000A424: DBC45400 7E000006
	ds_read_b64_tr_b8 a[128:129], v7 offset:3072               // 00000000A42C: DBC40C00 80000007
	ds_read_b64_tr_b8 a[130:131], v8 offset:3072               // 00000000A434: DBC40C00 82000008
	ds_read_b64_tr_b8 a[132:133], v7 offset:21504              // 00000000A43C: DBC45400 84000007
	ds_read_b64_tr_b8 a[134:135], v8 offset:21504              // 00000000A444: DBC45400 86000008
	s_cmp_le_i32 s83, s82                                      // 00000000A44C: BF055253
	s_cbranch_scc1 label_84A4                                  // 00000000A450: BF8500D4
	v_mov_b32_e32 v28, s82                                     // 00000000A454: 7E380252
	s_cmp_eq_i32 s81, 1                                        // 00000000A458: BF008151
	s_cbranch_scc1 label_8180                                  // 00000000A45C: BF850008
	s_cmp_eq_i32 s81, 2                                        // 00000000A460: BF008251
	s_cbranch_scc1 label_8174                                  // 00000000A464: BF850003
	v_add_i32 v28, s7, v28                                     // 00000000A468: D29C001C 00023807
	s_branch label_8180                                        // 00000000A470: BF820003

000000000000a474 <label_8174>:
	s_lshr_b32 s56, s7, 1                                      // 00000000A474: 8F388107
	v_add_u32_e32 v28, s56, v28                                // 00000000A478: 68383838
	s_branch label_8180                                        // 00000000A47C: BF820000

000000000000a480 <label_8180>:
	s_sub_u32 s56, s83, 63                                     // 00000000A480: 80B8BF53
	v_lshrrev_b32_e32 v223, 5, v0                              // 00000000A484: 21BE0085
	v_mul_i32_i24_e32 v223, 4, v223                            // 00000000A488: 0DBFBE84
	v_add_u32_e32 v223, s56, v223                              // 00000000A48C: 69BFBE38
	v_add_u32_e32 v224, 1, v223                                // 00000000A490: 69C1BE81
	v_add_u32_e32 v225, 2, v223                                // 00000000A494: 69C3BE82
	v_add_u32_e32 v226, 3, v223                                // 00000000A498: 69C5BE83
	v_mov_b32_e32 v31, 0xff800000                              // 00000000A49C: 7E3E02FF FF800000
	v_cmp_le_i32_e64 s[36:37], v223, v28                       // 00000000A4A4: D0C30024 000239DF
	s_nop 0                                                    // 00000000A4AC: BF800000
	v_cndmask_b32_e64 v32, v31, v32, s[36:37]                  // 00000000A4B0: D1000020 0092411F
	v_add_u32_e32 v223, 8, v223                                // 00000000A4B8: 69BFBE88
	v_cmp_le_i32_e64 s[36:37], v224, v28                       // 00000000A4BC: D0C30024 000239E0
	s_nop 0                                                    // 00000000A4C4: BF800000
	v_cndmask_b32_e64 v33, v31, v33, s[36:37]                  // 00000000A4C8: D1000021 0092431F
	v_add_u32_e32 v224, 8, v224                                // 00000000A4D0: 69C1C088
	v_cmp_le_i32_e64 s[36:37], v225, v28                       // 00000000A4D4: D0C30024 000239E1
	s_nop 0                                                    // 00000000A4DC: BF800000
	v_cndmask_b32_e64 v34, v31, v34, s[36:37]                  // 00000000A4E0: D1000022 0092451F
	v_add_u32_e32 v225, 8, v225                                // 00000000A4E8: 69C3C288
	v_cmp_le_i32_e64 s[36:37], v226, v28                       // 00000000A4EC: D0C30024 000239E2
	s_nop 0                                                    // 00000000A4F4: BF800000
	v_cndmask_b32_e64 v35, v31, v35, s[36:37]                  // 00000000A4F8: D1000023 0092471F
	v_add_u32_e32 v226, 8, v226                                // 00000000A500: 69C5C488
	v_cmp_le_i32_e64 s[36:37], v223, v28                       // 00000000A504: D0C30024 000239DF
	s_nop 0                                                    // 00000000A50C: BF800000
	v_cndmask_b32_e64 v36, v31, v36, s[36:37]                  // 00000000A510: D1000024 0092491F
	v_add_u32_e32 v223, 8, v223                                // 00000000A518: 69BFBE88
	v_cmp_le_i32_e64 s[36:37], v224, v28                       // 00000000A51C: D0C30024 000239E0
	s_nop 0                                                    // 00000000A524: BF800000
	v_cndmask_b32_e64 v37, v31, v37, s[36:37]                  // 00000000A528: D1000025 00924B1F
	v_add_u32_e32 v224, 8, v224                                // 00000000A530: 69C1C088
	v_cmp_le_i32_e64 s[36:37], v225, v28                       // 00000000A534: D0C30024 000239E1
	s_nop 0                                                    // 00000000A53C: BF800000
	v_cndmask_b32_e64 v38, v31, v38, s[36:37]                  // 00000000A540: D1000026 00924D1F
	v_add_u32_e32 v225, 8, v225                                // 00000000A548: 69C3C288
	v_cmp_le_i32_e64 s[36:37], v226, v28                       // 00000000A54C: D0C30024 000239E2
	s_nop 0                                                    // 00000000A554: BF800000
	v_cndmask_b32_e64 v39, v31, v39, s[36:37]                  // 00000000A558: D1000027 00924F1F
	v_add_u32_e32 v226, 8, v226                                // 00000000A560: 69C5C488
	v_cmp_le_i32_e64 s[36:37], v223, v28                       // 00000000A564: D0C30024 000239DF
	s_nop 0                                                    // 00000000A56C: BF800000
	v_cndmask_b32_e64 v40, v31, v40, s[36:37]                  // 00000000A570: D1000028 0092511F
	v_add_u32_e32 v223, 8, v223                                // 00000000A578: 69BFBE88
	v_cmp_le_i32_e64 s[36:37], v224, v28                       // 00000000A57C: D0C30024 000239E0
	s_nop 0                                                    // 00000000A584: BF800000
	v_cndmask_b32_e64 v41, v31, v41, s[36:37]                  // 00000000A588: D1000029 0092531F
	v_add_u32_e32 v224, 8, v224                                // 00000000A590: 69C1C088
	v_cmp_le_i32_e64 s[36:37], v225, v28                       // 00000000A594: D0C30024 000239E1
	s_nop 0                                                    // 00000000A59C: BF800000
	v_cndmask_b32_e64 v42, v31, v42, s[36:37]                  // 00000000A5A0: D100002A 0092551F
	v_add_u32_e32 v225, 8, v225                                // 00000000A5A8: 69C3C288
	v_cmp_le_i32_e64 s[36:37], v226, v28                       // 00000000A5AC: D0C30024 000239E2
	s_nop 0                                                    // 00000000A5B4: BF800000
	v_cndmask_b32_e64 v43, v31, v43, s[36:37]                  // 00000000A5B8: D100002B 0092571F
	v_add_u32_e32 v226, 8, v226                                // 00000000A5C0: 69C5C488
	v_cmp_le_i32_e64 s[36:37], v223, v28                       // 00000000A5C4: D0C30024 000239DF
	s_nop 0                                                    // 00000000A5CC: BF800000
	v_cndmask_b32_e64 v44, v31, v44, s[36:37]                  // 00000000A5D0: D100002C 0092591F
	v_add_u32_e32 v223, 8, v223                                // 00000000A5D8: 69BFBE88
	v_cmp_le_i32_e64 s[36:37], v224, v28                       // 00000000A5DC: D0C30024 000239E0
	s_nop 0                                                    // 00000000A5E4: BF800000
	v_cndmask_b32_e64 v45, v31, v45, s[36:37]                  // 00000000A5E8: D100002D 00925B1F
	v_add_u32_e32 v224, 8, v224                                // 00000000A5F0: 69C1C088
	v_cmp_le_i32_e64 s[36:37], v225, v28                       // 00000000A5F4: D0C30024 000239E1
	s_nop 0                                                    // 00000000A5FC: BF800000
	v_cndmask_b32_e64 v46, v31, v46, s[36:37]                  // 00000000A600: D100002E 00925D1F
	v_add_u32_e32 v225, 8, v225                                // 00000000A608: 69C3C288
	v_cmp_le_i32_e64 s[36:37], v226, v28                       // 00000000A60C: D0C30024 000239E2
	s_nop 0                                                    // 00000000A614: BF800000
	v_cndmask_b32_e64 v47, v31, v47, s[36:37]                  // 00000000A618: D100002F 00925F1F
	v_add_u32_e32 v226, 8, v226                                // 00000000A620: 69C5C488
	v_cmp_le_i32_e64 s[36:37], v223, v28                       // 00000000A624: D0C30024 000239DF
	s_nop 0                                                    // 00000000A62C: BF800000
	v_cndmask_b32_e64 v48, v31, v48, s[36:37]                  // 00000000A630: D1000030 0092611F
	v_add_u32_e32 v223, 8, v223                                // 00000000A638: 69BFBE88
	v_cmp_le_i32_e64 s[36:37], v224, v28                       // 00000000A63C: D0C30024 000239E0
	s_nop 0                                                    // 00000000A644: BF800000
	v_cndmask_b32_e64 v49, v31, v49, s[36:37]                  // 00000000A648: D1000031 0092631F
	v_add_u32_e32 v224, 8, v224                                // 00000000A650: 69C1C088
	v_cmp_le_i32_e64 s[36:37], v225, v28                       // 00000000A654: D0C30024 000239E1
	s_nop 0                                                    // 00000000A65C: BF800000
	v_cndmask_b32_e64 v50, v31, v50, s[36:37]                  // 00000000A660: D1000032 0092651F
	v_add_u32_e32 v225, 8, v225                                // 00000000A668: 69C3C288
	v_cmp_le_i32_e64 s[36:37], v226, v28                       // 00000000A66C: D0C30024 000239E2
	s_nop 0                                                    // 00000000A674: BF800000
	v_cndmask_b32_e64 v51, v31, v51, s[36:37]                  // 00000000A678: D1000033 0092671F
	v_add_u32_e32 v226, 8, v226                                // 00000000A680: 69C5C488
	v_cmp_le_i32_e64 s[36:37], v223, v28                       // 00000000A684: D0C30024 000239DF
	s_nop 0                                                    // 00000000A68C: BF800000
	v_cndmask_b32_e64 v52, v31, v52, s[36:37]                  // 00000000A690: D1000034 0092691F
	v_add_u32_e32 v223, 8, v223                                // 00000000A698: 69BFBE88
	v_cmp_le_i32_e64 s[36:37], v224, v28                       // 00000000A69C: D0C30024 000239E0
	s_nop 0                                                    // 00000000A6A4: BF800000
	v_cndmask_b32_e64 v53, v31, v53, s[36:37]                  // 00000000A6A8: D1000035 00926B1F
	v_add_u32_e32 v224, 8, v224                                // 00000000A6B0: 69C1C088
	v_cmp_le_i32_e64 s[36:37], v225, v28                       // 00000000A6B4: D0C30024 000239E1
	s_nop 0                                                    // 00000000A6BC: BF800000
	v_cndmask_b32_e64 v54, v31, v54, s[36:37]                  // 00000000A6C0: D1000036 00926D1F
	v_add_u32_e32 v225, 8, v225                                // 00000000A6C8: 69C3C288
	v_cmp_le_i32_e64 s[36:37], v226, v28                       // 00000000A6CC: D0C30024 000239E2
	s_nop 0                                                    // 00000000A6D4: BF800000
	v_cndmask_b32_e64 v55, v31, v55, s[36:37]                  // 00000000A6D8: D1000037 00926F1F
	v_add_u32_e32 v226, 8, v226                                // 00000000A6E0: 69C5C488
	v_cmp_le_i32_e64 s[36:37], v223, v28                       // 00000000A6E4: D0C30024 000239DF
	s_nop 0                                                    // 00000000A6EC: BF800000
	v_cndmask_b32_e64 v56, v31, v56, s[36:37]                  // 00000000A6F0: D1000038 0092711F
	v_add_u32_e32 v223, 8, v223                                // 00000000A6F8: 69BFBE88
	v_cmp_le_i32_e64 s[36:37], v224, v28                       // 00000000A6FC: D0C30024 000239E0
	s_nop 0                                                    // 00000000A704: BF800000
	v_cndmask_b32_e64 v57, v31, v57, s[36:37]                  // 00000000A708: D1000039 0092731F
	v_add_u32_e32 v224, 8, v224                                // 00000000A710: 69C1C088
	v_cmp_le_i32_e64 s[36:37], v225, v28                       // 00000000A714: D0C30024 000239E1
	s_nop 0                                                    // 00000000A71C: BF800000
	v_cndmask_b32_e64 v58, v31, v58, s[36:37]                  // 00000000A720: D100003A 0092751F
	v_add_u32_e32 v225, 8, v225                                // 00000000A728: 69C3C288
	v_cmp_le_i32_e64 s[36:37], v226, v28                       // 00000000A72C: D0C30024 000239E2
	s_nop 0                                                    // 00000000A734: BF800000
	v_cndmask_b32_e64 v59, v31, v59, s[36:37]                  // 00000000A738: D100003B 0092771F
	v_add_u32_e32 v226, 8, v226                                // 00000000A740: 69C5C488
	v_cmp_le_i32_e64 s[36:37], v223, v28                       // 00000000A744: D0C30024 000239DF
	s_nop 0                                                    // 00000000A74C: BF800000
	v_cndmask_b32_e64 v60, v31, v60, s[36:37]                  // 00000000A750: D100003C 0092791F
	v_add_u32_e32 v223, 8, v223                                // 00000000A758: 69BFBE88
	v_cmp_le_i32_e64 s[36:37], v224, v28                       // 00000000A75C: D0C30024 000239E0
	s_nop 0                                                    // 00000000A764: BF800000
	v_cndmask_b32_e64 v61, v31, v61, s[36:37]                  // 00000000A768: D100003D 00927B1F
	v_add_u32_e32 v224, 8, v224                                // 00000000A770: 69C1C088
	v_cmp_le_i32_e64 s[36:37], v225, v28                       // 00000000A774: D0C30024 000239E1
	s_nop 0                                                    // 00000000A77C: BF800000
	v_cndmask_b32_e64 v62, v31, v62, s[36:37]                  // 00000000A780: D100003E 00927D1F
	v_add_u32_e32 v225, 8, v225                                // 00000000A788: 69C3C288
	v_cmp_le_i32_e64 s[36:37], v226, v28                       // 00000000A78C: D0C30024 000239E2
	s_nop 0                                                    // 00000000A794: BF800000
	v_cndmask_b32_e64 v63, v31, v63, s[36:37]                  // 00000000A798: D100003F 00927F1F
	v_add_u32_e32 v226, 8, v226                                // 00000000A7A0: 69C5C488

000000000000a7a4 <label_84A4>:
	s_add_u32 s83, s84, s83                                    // 00000000A7A4: 80535354
	s_nop 2                                                    // 00000000A7A8: BF800002
	v_mov_b32_e32 v29, v32                                     // 00000000A7AC: 7E3A0320
	v_max3_f32 v29, v32, v33, v29                              // 00000000A7B0: D1D3001D 04764320
	v_max3_f32 v29, v34, v35, v29                              // 00000000A7B8: D1D3001D 04764722
	v_max3_f32 v29, v36, v37, v29                              // 00000000A7C0: D1D3001D 04764B24
	v_max3_f32 v29, v38, v39, v29                              // 00000000A7C8: D1D3001D 04764F26
	v_max3_f32 v29, v40, v41, v29                              // 00000000A7D0: D1D3001D 04765328
	v_max3_f32 v29, v42, v43, v29                              // 00000000A7D8: D1D3001D 0476572A
	v_max3_f32 v29, v44, v45, v29                              // 00000000A7E0: D1D3001D 04765B2C
	v_max3_f32 v29, v46, v47, v29                              // 00000000A7E8: D1D3001D 04765F2E
	v_max3_f32 v29, v48, v49, v29                              // 00000000A7F0: D1D3001D 04766330
	v_max3_f32 v29, v50, v51, v29                              // 00000000A7F8: D1D3001D 04766732
	v_max3_f32 v29, v52, v53, v29                              // 00000000A800: D1D3001D 04766B34
	v_max3_f32 v29, v54, v55, v29                              // 00000000A808: D1D3001D 04766F36
	v_max3_f32 v29, v56, v57, v29                              // 00000000A810: D1D3001D 04767338
	v_max3_f32 v29, v58, v59, v29                              // 00000000A818: D1D3001D 0476773A
	v_max3_f32 v29, v60, v61, v29                              // 00000000A820: D1D3001D 04767B3C
	v_max3_f32 v29, v62, v63, v29                              // 00000000A828: D1D3001D 04767F3E
	v_mov_b32_e32 v28, v29                                     // 00000000A830: 7E38031D
	v_mov_b32_e32 v29, v29                                     // 00000000A834: 7E3A031D
	s_nop 1                                                    // 00000000A838: BF800001
	v_permlane32_swap_b32_e32 v28, v29                         // 00000000A83C: 7E38B51D
	v_max3_f32 v29, v28, v29, v29                              // 00000000A840: D1D3001D 04763B1C
	v_mov_b32_e32 v28, 0xff800000                              // 00000000A848: 7E3802FF FF800000
	v_cmp_eq_u32_e64 s[36:37], v28, v2                         // 00000000A850: D0CA0024 0002051C
	v_max_f32_e32 v29, v29, v2                                 // 00000000A858: 163A051D
	v_sub_f32_e32 v17, v2, v29                                 // 00000000A85C: 04223B02
	v_cndmask_b32_e64 v17, v17, 0, s[36:37]                    // 00000000A860: D1000011 00910111
	v_mov_b32_e32 v2, v29                                      // 00000000A868: 7E04031D
	v_mul_f32_e32 v29, s5, v29                                 // 00000000A86C: 0A3A3A05
	v_mul_f32_e32 v17, s5, v17                                 // 00000000A870: 0A222205
	v_exp_f32_e32 v17, v17                                     // 00000000A874: 7E224111
	v_fma_f32 v32, v32, s5, -v29                               // 00000000A878: D1CB0020 84740B20
	v_fma_f32 v33, v33, s5, -v29                               // 00000000A880: D1CB0021 84740B21
	v_fma_f32 v34, v34, s5, -v29                               // 00000000A888: D1CB0022 84740B22
	v_fma_f32 v35, v35, s5, -v29                               // 00000000A890: D1CB0023 84740B23
	v_fma_f32 v36, v36, s5, -v29                               // 00000000A898: D1CB0024 84740B24
	v_fma_f32 v37, v37, s5, -v29                               // 00000000A8A0: D1CB0025 84740B25
	v_fma_f32 v38, v38, s5, -v29                               // 00000000A8A8: D1CB0026 84740B26
	v_fma_f32 v39, v39, s5, -v29                               // 00000000A8B0: D1CB0027 84740B27
	v_fma_f32 v40, v40, s5, -v29                               // 00000000A8B8: D1CB0028 84740B28
	v_fma_f32 v41, v41, s5, -v29                               // 00000000A8C0: D1CB0029 84740B29
	v_fma_f32 v42, v42, s5, -v29                               // 00000000A8C8: D1CB002A 84740B2A
	v_fma_f32 v43, v43, s5, -v29                               // 00000000A8D0: D1CB002B 84740B2B
	v_fma_f32 v44, v44, s5, -v29                               // 00000000A8D8: D1CB002C 84740B2C
	v_fma_f32 v45, v45, s5, -v29                               // 00000000A8E0: D1CB002D 84740B2D
	v_fma_f32 v46, v46, s5, -v29                               // 00000000A8E8: D1CB002E 84740B2E
	v_fma_f32 v47, v47, s5, -v29                               // 00000000A8F0: D1CB002F 84740B2F
	v_fma_f32 v48, v48, s5, -v29                               // 00000000A8F8: D1CB0030 84740B30
	v_fma_f32 v49, v49, s5, -v29                               // 00000000A900: D1CB0031 84740B31
	v_fma_f32 v50, v50, s5, -v29                               // 00000000A908: D1CB0032 84740B32
	v_fma_f32 v51, v51, s5, -v29                               // 00000000A910: D1CB0033 84740B33
	v_fma_f32 v52, v52, s5, -v29                               // 00000000A918: D1CB0034 84740B34
	v_fma_f32 v53, v53, s5, -v29                               // 00000000A920: D1CB0035 84740B35
	v_fma_f32 v54, v54, s5, -v29                               // 00000000A928: D1CB0036 84740B36
	v_fma_f32 v55, v55, s5, -v29                               // 00000000A930: D1CB0037 84740B37
	v_fma_f32 v56, v56, s5, -v29                               // 00000000A938: D1CB0038 84740B38
	v_fma_f32 v57, v57, s5, -v29                               // 00000000A940: D1CB0039 84740B39
	v_fma_f32 v58, v58, s5, -v29                               // 00000000A948: D1CB003A 84740B3A
	v_fma_f32 v59, v59, s5, -v29                               // 00000000A950: D1CB003B 84740B3B
	v_fma_f32 v60, v60, s5, -v29                               // 00000000A958: D1CB003C 84740B3C
	v_fma_f32 v61, v61, s5, -v29                               // 00000000A960: D1CB003D 84740B3D
	v_fma_f32 v62, v62, s5, -v29                               // 00000000A968: D1CB003E 84740B3E
	v_fma_f32 v63, v63, s5, -v29                               // 00000000A970: D1CB003F 84740B3F
	v_exp_f32_e32 v32, v32                                     // 00000000A978: 7E404120
	v_exp_f32_e32 v33, v33                                     // 00000000A97C: 7E424121
	v_exp_f32_e32 v34, v34                                     // 00000000A980: 7E444122
	v_exp_f32_e32 v35, v35                                     // 00000000A984: 7E464123
	v_exp_f32_e32 v36, v36                                     // 00000000A988: 7E484124
	v_exp_f32_e32 v37, v37                                     // 00000000A98C: 7E4A4125
	v_exp_f32_e32 v38, v38                                     // 00000000A990: 7E4C4126
	v_exp_f32_e32 v39, v39                                     // 00000000A994: 7E4E4127
	v_exp_f32_e32 v40, v40                                     // 00000000A998: 7E504128
	v_exp_f32_e32 v41, v41                                     // 00000000A99C: 7E524129
	v_exp_f32_e32 v42, v42                                     // 00000000A9A0: 7E54412A
	v_exp_f32_e32 v43, v43                                     // 00000000A9A4: 7E56412B
	v_exp_f32_e32 v44, v44                                     // 00000000A9A8: 7E58412C
	v_exp_f32_e32 v45, v45                                     // 00000000A9AC: 7E5A412D
	v_exp_f32_e32 v46, v46                                     // 00000000A9B0: 7E5C412E
	v_exp_f32_e32 v47, v47                                     // 00000000A9B4: 7E5E412F
	v_exp_f32_e32 v48, v48                                     // 00000000A9B8: 7E604130
	v_exp_f32_e32 v49, v49                                     // 00000000A9BC: 7E624131
	v_exp_f32_e32 v50, v50                                     // 00000000A9C0: 7E644132
	v_exp_f32_e32 v51, v51                                     // 00000000A9C4: 7E664133
	v_exp_f32_e32 v52, v52                                     // 00000000A9C8: 7E684134
	v_exp_f32_e32 v53, v53                                     // 00000000A9CC: 7E6A4135
	v_exp_f32_e32 v54, v54                                     // 00000000A9D0: 7E6C4136
	v_exp_f32_e32 v55, v55                                     // 00000000A9D4: 7E6E4137
	v_exp_f32_e32 v56, v56                                     // 00000000A9D8: 7E704138
	v_exp_f32_e32 v57, v57                                     // 00000000A9DC: 7E724139
	v_exp_f32_e32 v58, v58                                     // 00000000A9E0: 7E74413A
	v_exp_f32_e32 v59, v59                                     // 00000000A9E4: 7E76413B
	v_exp_f32_e32 v60, v60                                     // 00000000A9E8: 7E78413C
	v_exp_f32_e32 v61, v61                                     // 00000000A9EC: 7E7A413D
	v_exp_f32_e32 v62, v62                                     // 00000000A9F0: 7E7C413E
	v_exp_f32_e32 v63, v63                                     // 00000000A9F4: 7E7E413F
	v_mul_f32_e32 v4, v17, v4                                  // 00000000A9F8: 0A080911
	v_mov_b32_e32 v28, v32                                     // 00000000A9FC: 7E380320
	v_add_f32_e32 v28, v33, v28                                // 00000000AA00: 02383921
	v_add_f32_e32 v28, v34, v28                                // 00000000AA04: 02383922
	v_add_f32_e32 v28, v35, v28                                // 00000000AA08: 02383923
	v_add_f32_e32 v28, v36, v28                                // 00000000AA0C: 02383924
	v_add_f32_e32 v28, v37, v28                                // 00000000AA10: 02383925
	v_add_f32_e32 v28, v38, v28                                // 00000000AA14: 02383926
	v_add_f32_e32 v28, v39, v28                                // 00000000AA18: 02383927
	v_add_f32_e32 v28, v40, v28                                // 00000000AA1C: 02383928
	v_add_f32_e32 v28, v41, v28                                // 00000000AA20: 02383929
	v_add_f32_e32 v28, v42, v28                                // 00000000AA24: 0238392A
	v_add_f32_e32 v28, v43, v28                                // 00000000AA28: 0238392B
	v_add_f32_e32 v28, v44, v28                                // 00000000AA2C: 0238392C
	v_add_f32_e32 v28, v45, v28                                // 00000000AA30: 0238392D
	v_add_f32_e32 v28, v46, v28                                // 00000000AA34: 0238392E
	v_add_f32_e32 v28, v47, v28                                // 00000000AA38: 0238392F
	v_add_f32_e32 v28, v48, v28                                // 00000000AA3C: 02383930
	v_add_f32_e32 v28, v49, v28                                // 00000000AA40: 02383931
	v_add_f32_e32 v28, v50, v28                                // 00000000AA44: 02383932
	v_add_f32_e32 v28, v51, v28                                // 00000000AA48: 02383933
	v_add_f32_e32 v28, v52, v28                                // 00000000AA4C: 02383934
	v_add_f32_e32 v28, v53, v28                                // 00000000AA50: 02383935
	v_add_f32_e32 v28, v54, v28                                // 00000000AA54: 02383936
	v_add_f32_e32 v28, v55, v28                                // 00000000AA58: 02383937
	v_add_f32_e32 v28, v56, v28                                // 00000000AA5C: 02383938
	v_add_f32_e32 v28, v57, v28                                // 00000000AA60: 02383939
	v_add_f32_e32 v28, v58, v28                                // 00000000AA64: 0238393A
	v_add_f32_e32 v28, v59, v28                                // 00000000AA68: 0238393B
	v_add_f32_e32 v28, v60, v28                                // 00000000AA6C: 0238393C
	v_add_f32_e32 v28, v61, v28                                // 00000000AA70: 0238393D
	v_add_f32_e32 v28, v62, v28                                // 00000000AA74: 0238393E
	v_add_f32_e32 v28, v63, v28                                // 00000000AA78: 0238393F
	v_add_f32_e32 v4, v28, v4                                  // 00000000AA7C: 0208091C
	v_cvt_pk_fp8_f32 v32, v32, v33                             // 00000000AA80: D2A20020 00024320
	v_cvt_pk_fp8_f32 v32, v34, v35 op_sel:[0,0,1]              // 00000000AA88: D2A24020 00024722
	v_cvt_pk_fp8_f32 v33, v36, v37                             // 00000000AA90: D2A20021 00024B24
	v_cvt_pk_fp8_f32 v33, v38, v39 op_sel:[0,0,1]              // 00000000AA98: D2A24021 00024F26
	v_cvt_pk_fp8_f32 v34, v40, v41                             // 00000000AAA0: D2A20022 00025328
	v_cvt_pk_fp8_f32 v34, v42, v43 op_sel:[0,0,1]              // 00000000AAA8: D2A24022 0002572A
	v_cvt_pk_fp8_f32 v35, v44, v45                             // 00000000AAB0: D2A20023 00025B2C
	v_cvt_pk_fp8_f32 v35, v46, v47 op_sel:[0,0,1]              // 00000000AAB8: D2A24023 00025F2E
	v_cvt_pk_fp8_f32 v36, v48, v49                             // 00000000AAC0: D2A20024 00026330
	v_cvt_pk_fp8_f32 v36, v50, v51 op_sel:[0,0,1]              // 00000000AAC8: D2A24024 00026732
	v_cvt_pk_fp8_f32 v37, v52, v53                             // 00000000AAD0: D2A20025 00026B34
	v_cvt_pk_fp8_f32 v37, v54, v55 op_sel:[0,0,1]              // 00000000AAD8: D2A24025 00026F36
	v_cvt_pk_fp8_f32 v38, v56, v57                             // 00000000AAE0: D2A20026 00027338
	v_cvt_pk_fp8_f32 v38, v58, v59 op_sel:[0,0,1]              // 00000000AAE8: D2A24026 0002773A
	v_cvt_pk_fp8_f32 v39, v60, v61                             // 00000000AAF0: D2A20027 00027B3C
	v_cvt_pk_fp8_f32 v39, v62, v63 op_sel:[0,0,1]              // 00000000AAF8: D2A24027 00027F3E
	v_permlane32_swap_b32_e32 v32, v34                         // 00000000AB00: 7E40B522
	v_permlane32_swap_b32_e32 v33, v35                         // 00000000AB04: 7E42B523
	v_swap_b32 v33, v34                                        // 00000000AB08: 7E42A322
	v_permlane32_swap_b32_e32 v36, v38                         // 00000000AB0C: 7E48B526
	v_permlane32_swap_b32_e32 v37, v39                         // 00000000AB10: 7E4AB527
	v_swap_b32 v37, v38                                        // 00000000AB14: 7E4AA326
	v_mov_b32_e32 v28, v17                                     // 00000000AB18: 7E380311
	v_mul_f32_e32 v64, v28, v64                                // 00000000AB1C: 0A80811C
	v_mul_f32_e32 v65, v28, v65                                // 00000000AB20: 0A82831C
	v_mul_f32_e32 v66, v28, v66                                // 00000000AB24: 0A84851C
	v_mul_f32_e32 v67, v28, v67                                // 00000000AB28: 0A86871C
	v_mul_f32_e32 v68, v28, v68                                // 00000000AB2C: 0A88891C
	v_mul_f32_e32 v69, v28, v69                                // 00000000AB30: 0A8A8B1C
	v_mul_f32_e32 v70, v28, v70                                // 00000000AB34: 0A8C8D1C
	v_mul_f32_e32 v71, v28, v71                                // 00000000AB38: 0A8E8F1C
	v_mul_f32_e32 v72, v28, v72                                // 00000000AB3C: 0A90911C
	v_mul_f32_e32 v73, v28, v73                                // 00000000AB40: 0A92931C
	v_mul_f32_e32 v74, v28, v74                                // 00000000AB44: 0A94951C
	v_mul_f32_e32 v75, v28, v75                                // 00000000AB48: 0A96971C
	v_mul_f32_e32 v76, v28, v76                                // 00000000AB4C: 0A98991C
	v_mul_f32_e32 v77, v28, v77                                // 00000000AB50: 0A9A9B1C
	v_mul_f32_e32 v78, v28, v78                                // 00000000AB54: 0A9C9D1C
	v_mul_f32_e32 v79, v28, v79                                // 00000000AB58: 0A9E9F1C
	v_mul_f32_e32 v80, v28, v80                                // 00000000AB5C: 0AA0A11C
	v_mul_f32_e32 v81, v28, v81                                // 00000000AB60: 0AA2A31C
	v_mul_f32_e32 v82, v28, v82                                // 00000000AB64: 0AA4A51C
	v_mul_f32_e32 v83, v28, v83                                // 00000000AB68: 0AA6A71C
	v_mul_f32_e32 v84, v28, v84                                // 00000000AB6C: 0AA8A91C
	v_mul_f32_e32 v85, v28, v85                                // 00000000AB70: 0AAAAB1C
	v_mul_f32_e32 v86, v28, v86                                // 00000000AB74: 0AACAD1C
	v_mul_f32_e32 v87, v28, v87                                // 00000000AB78: 0AAEAF1C
	v_mul_f32_e32 v88, v28, v88                                // 00000000AB7C: 0AB0B11C
	v_mul_f32_e32 v89, v28, v89                                // 00000000AB80: 0AB2B31C
	v_mul_f32_e32 v90, v28, v90                                // 00000000AB84: 0AB4B51C
	v_mul_f32_e32 v91, v28, v91                                // 00000000AB88: 0AB6B71C
	v_mul_f32_e32 v92, v28, v92                                // 00000000AB8C: 0AB8B91C
	v_mul_f32_e32 v93, v28, v93                                // 00000000AB90: 0ABABB1C
	v_mul_f32_e32 v94, v28, v94                                // 00000000AB94: 0ABCBD1C
	v_mul_f32_e32 v95, v28, v95                                // 00000000AB98: 0ABEBF1C
	v_mul_f32_e32 v96, v28, v96                                // 00000000AB9C: 0AC0C11C
	v_mul_f32_e32 v97, v28, v97                                // 00000000ABA0: 0AC2C31C
	v_mul_f32_e32 v98, v28, v98                                // 00000000ABA4: 0AC4C51C
	v_mul_f32_e32 v99, v28, v99                                // 00000000ABA8: 0AC6C71C
	v_mul_f32_e32 v100, v28, v100                              // 00000000ABAC: 0AC8C91C
	v_mul_f32_e32 v101, v28, v101                              // 00000000ABB0: 0ACACB1C
	v_mul_f32_e32 v102, v28, v102                              // 00000000ABB4: 0ACCCD1C
	v_mul_f32_e32 v103, v28, v103                              // 00000000ABB8: 0ACECF1C
	v_mul_f32_e32 v104, v28, v104                              // 00000000ABBC: 0AD0D11C
	v_mul_f32_e32 v105, v28, v105                              // 00000000ABC0: 0AD2D31C
	v_mul_f32_e32 v106, v28, v106                              // 00000000ABC4: 0AD4D51C
	v_mul_f32_e32 v107, v28, v107                              // 00000000ABC8: 0AD6D71C
	v_mul_f32_e32 v108, v28, v108                              // 00000000ABCC: 0AD8D91C
	v_mul_f32_e32 v109, v28, v109                              // 00000000ABD0: 0ADADB1C
	v_mul_f32_e32 v110, v28, v110                              // 00000000ABD4: 0ADCDD1C
	v_mul_f32_e32 v111, v28, v111                              // 00000000ABD8: 0ADEDF1C
	v_mul_f32_e32 v112, v28, v112                              // 00000000ABDC: 0AE0E11C
	v_mul_f32_e32 v113, v28, v113                              // 00000000ABE0: 0AE2E31C
	v_mul_f32_e32 v114, v28, v114                              // 00000000ABE4: 0AE4E51C
	v_mul_f32_e32 v115, v28, v115                              // 00000000ABE8: 0AE6E71C
	v_mul_f32_e32 v116, v28, v116                              // 00000000ABEC: 0AE8E91C
	v_mul_f32_e32 v117, v28, v117                              // 00000000ABF0: 0AEAEB1C
	v_mul_f32_e32 v118, v28, v118                              // 00000000ABF4: 0AECED1C
	v_mul_f32_e32 v119, v28, v119                              // 00000000ABF8: 0AEEEF1C
	v_mul_f32_e32 v120, v28, v120                              // 00000000ABFC: 0AF0F11C
	v_mul_f32_e32 v121, v28, v121                              // 00000000AC00: 0AF2F31C
	v_mul_f32_e32 v122, v28, v122                              // 00000000AC04: 0AF4F51C
	v_mul_f32_e32 v123, v28, v123                              // 00000000AC08: 0AF6F71C
	v_mul_f32_e32 v124, v28, v124                              // 00000000AC0C: 0AF8F91C
	v_mul_f32_e32 v125, v28, v125                              // 00000000AC10: 0AFAFB1C
	v_mul_f32_e32 v126, v28, v126                              // 00000000AC14: 0AFCFD1C
	v_mul_f32_e32 v127, v28, v127                              // 00000000AC18: 0AFEFF1C
	v_mul_f32_e32 v128, v28, v128                              // 00000000AC1C: 0B01011C
	v_mul_f32_e32 v129, v28, v129                              // 00000000AC20: 0B03031C
	v_mul_f32_e32 v130, v28, v130                              // 00000000AC24: 0B05051C
	v_mul_f32_e32 v131, v28, v131                              // 00000000AC28: 0B07071C
	v_mul_f32_e32 v132, v28, v132                              // 00000000AC2C: 0B09091C
	v_mul_f32_e32 v133, v28, v133                              // 00000000AC30: 0B0B0B1C
	v_mul_f32_e32 v134, v28, v134                              // 00000000AC34: 0B0D0D1C
	v_mul_f32_e32 v135, v28, v135                              // 00000000AC38: 0B0F0F1C
	v_mul_f32_e32 v136, v28, v136                              // 00000000AC3C: 0B11111C
	v_mul_f32_e32 v137, v28, v137                              // 00000000AC40: 0B13131C
	v_mul_f32_e32 v138, v28, v138                              // 00000000AC44: 0B15151C
	v_mul_f32_e32 v139, v28, v139                              // 00000000AC48: 0B17171C
	v_mul_f32_e32 v140, v28, v140                              // 00000000AC4C: 0B19191C
	v_mul_f32_e32 v141, v28, v141                              // 00000000AC50: 0B1B1B1C
	v_mul_f32_e32 v142, v28, v142                              // 00000000AC54: 0B1D1D1C
	v_mul_f32_e32 v143, v28, v143                              // 00000000AC58: 0B1F1F1C
	v_mul_f32_e32 v144, v28, v144                              // 00000000AC5C: 0B21211C
	v_mul_f32_e32 v145, v28, v145                              // 00000000AC60: 0B23231C
	v_mul_f32_e32 v146, v28, v146                              // 00000000AC64: 0B25251C
	v_mul_f32_e32 v147, v28, v147                              // 00000000AC68: 0B27271C
	v_mul_f32_e32 v148, v28, v148                              // 00000000AC6C: 0B29291C
	v_mul_f32_e32 v149, v28, v149                              // 00000000AC70: 0B2B2B1C
	v_mul_f32_e32 v150, v28, v150                              // 00000000AC74: 0B2D2D1C
	v_mul_f32_e32 v151, v28, v151                              // 00000000AC78: 0B2F2F1C
	v_mul_f32_e32 v152, v28, v152                              // 00000000AC7C: 0B31311C
	v_mul_f32_e32 v153, v28, v153                              // 00000000AC80: 0B33331C
	v_mul_f32_e32 v154, v28, v154                              // 00000000AC84: 0B35351C
	v_mul_f32_e32 v155, v28, v155                              // 00000000AC88: 0B37371C
	v_mul_f32_e32 v156, v28, v156                              // 00000000AC8C: 0B39391C
	v_mul_f32_e32 v157, v28, v157                              // 00000000AC90: 0B3B3B1C
	v_mul_f32_e32 v158, v28, v158                              // 00000000AC94: 0B3D3D1C
	v_mul_f32_e32 v159, v28, v159                              // 00000000AC98: 0B3F3F1C
	v_mul_f32_e32 v160, v28, v160                              // 00000000AC9C: 0B41411C
	v_mul_f32_e32 v161, v28, v161                              // 00000000ACA0: 0B43431C
	v_mul_f32_e32 v162, v28, v162                              // 00000000ACA4: 0B45451C
	v_mul_f32_e32 v163, v28, v163                              // 00000000ACA8: 0B47471C
	v_mul_f32_e32 v164, v28, v164                              // 00000000ACAC: 0B49491C
	v_mul_f32_e32 v165, v28, v165                              // 00000000ACB0: 0B4B4B1C
	v_mul_f32_e32 v166, v28, v166                              // 00000000ACB4: 0B4D4D1C
	v_mul_f32_e32 v167, v28, v167                              // 00000000ACB8: 0B4F4F1C
	v_mul_f32_e32 v168, v28, v168                              // 00000000ACBC: 0B51511C
	v_mul_f32_e32 v169, v28, v169                              // 00000000ACC0: 0B53531C
	v_mul_f32_e32 v170, v28, v170                              // 00000000ACC4: 0B55551C
	v_mul_f32_e32 v171, v28, v171                              // 00000000ACC8: 0B57571C
	v_mul_f32_e32 v172, v28, v172                              // 00000000ACCC: 0B59591C
	v_mul_f32_e32 v173, v28, v173                              // 00000000ACD0: 0B5B5B1C
	v_mul_f32_e32 v174, v28, v174                              // 00000000ACD4: 0B5D5D1C
	v_mul_f32_e32 v175, v28, v175                              // 00000000ACD8: 0B5F5F1C
	v_mul_f32_e32 v176, v28, v176                              // 00000000ACDC: 0B61611C
	v_mul_f32_e32 v177, v28, v177                              // 00000000ACE0: 0B63631C
	v_mul_f32_e32 v178, v28, v178                              // 00000000ACE4: 0B65651C
	v_mul_f32_e32 v179, v28, v179                              // 00000000ACE8: 0B67671C
	v_mul_f32_e32 v180, v28, v180                              // 00000000ACEC: 0B69691C
	v_mul_f32_e32 v181, v28, v181                              // 00000000ACF0: 0B6B6B1C
	v_mul_f32_e32 v182, v28, v182                              // 00000000ACF4: 0B6D6D1C
	v_mul_f32_e32 v183, v28, v183                              // 00000000ACF8: 0B6F6F1C
	v_mul_f32_e32 v184, v28, v184                              // 00000000ACFC: 0B71711C
	v_mul_f32_e32 v185, v28, v185                              // 00000000AD00: 0B73731C
	v_mul_f32_e32 v186, v28, v186                              // 00000000AD04: 0B75751C
	v_mul_f32_e32 v187, v28, v187                              // 00000000AD08: 0B77771C
	v_mul_f32_e32 v188, v28, v188                              // 00000000AD0C: 0B79791C
	v_mul_f32_e32 v189, v28, v189                              // 00000000AD10: 0B7B7B1C
	v_mul_f32_e32 v190, v28, v190                              // 00000000AD14: 0B7D7D1C
	v_mul_f32_e32 v191, v28, v191                              // 00000000AD18: 0B7F7F1C
	v_mul_f32_e32 v192, v28, v192                              // 00000000AD1C: 0B81811C
	v_mul_f32_e32 v193, v28, v193                              // 00000000AD20: 0B83831C
	v_mul_f32_e32 v194, v28, v194                              // 00000000AD24: 0B85851C
	v_mul_f32_e32 v195, v28, v195                              // 00000000AD28: 0B87871C
	v_mul_f32_e32 v196, v28, v196                              // 00000000AD2C: 0B89891C
	v_mul_f32_e32 v197, v28, v197                              // 00000000AD30: 0B8B8B1C
	v_mul_f32_e32 v198, v28, v198                              // 00000000AD34: 0B8D8D1C
	v_mul_f32_e32 v199, v28, v199                              // 00000000AD38: 0B8F8F1C
	v_mul_f32_e32 v200, v28, v200                              // 00000000AD3C: 0B91911C
	v_mul_f32_e32 v201, v28, v201                              // 00000000AD40: 0B93931C
	v_mul_f32_e32 v202, v28, v202                              // 00000000AD44: 0B95951C
	v_mul_f32_e32 v203, v28, v203                              // 00000000AD48: 0B97971C
	v_mul_f32_e32 v204, v28, v204                              // 00000000AD4C: 0B99991C
	v_mul_f32_e32 v205, v28, v205                              // 00000000AD50: 0B9B9B1C
	v_mul_f32_e32 v206, v28, v206                              // 00000000AD54: 0B9D9D1C
	v_mul_f32_e32 v207, v28, v207                              // 00000000AD58: 0B9F9F1C
	v_mul_f32_e32 v208, v28, v208                              // 00000000AD5C: 0BA1A11C
	v_mul_f32_e32 v209, v28, v209                              // 00000000AD60: 0BA3A31C
	v_mul_f32_e32 v210, v28, v210                              // 00000000AD64: 0BA5A51C
	v_mul_f32_e32 v211, v28, v211                              // 00000000AD68: 0BA7A71C
	v_mul_f32_e32 v212, v28, v212                              // 00000000AD6C: 0BA9A91C
	v_mul_f32_e32 v213, v28, v213                              // 00000000AD70: 0BABAB1C
	v_mul_f32_e32 v214, v28, v214                              // 00000000AD74: 0BADAD1C
	v_mul_f32_e32 v215, v28, v215                              // 00000000AD78: 0BAFAF1C
	v_mul_f32_e32 v216, v28, v216                              // 00000000AD7C: 0BB1B11C
	v_mul_f32_e32 v217, v28, v217                              // 00000000AD80: 0BB3B31C
	v_mul_f32_e32 v218, v28, v218                              // 00000000AD84: 0BB5B51C
	v_mul_f32_e32 v219, v28, v219                              // 00000000AD88: 0BB7B71C
	v_mul_f32_e32 v220, v28, v220                              // 00000000AD8C: 0BB9B91C
	v_mul_f32_e32 v221, v28, v221                              // 00000000AD90: 0BBBBB1C
	v_mul_f32_e32 v222, v28, v222                              // 00000000AD94: 0BBDBD1C
	v_mul_f32_e32 v223, v28, v223                              // 00000000AD98: 0BBFBF1C
	v_accvgpr_read_b32 v29, a144                               // 00000000AD9C: D3D8401D 18000190
	v_mul_f32_e32 v29, v28, v29                                // 00000000ADA4: 0A3A3B1C
	v_accvgpr_write_b32 a144, v29                              // 00000000ADA8: D3D94090 1800011D
	v_accvgpr_read_b32 v29, a145                               // 00000000ADB0: D3D8401D 18000191
	v_mul_f32_e32 v29, v28, v29                                // 00000000ADB8: 0A3A3B1C
	v_accvgpr_write_b32 a145, v29                              // 00000000ADBC: D3D94091 1800011D
	v_accvgpr_read_b32 v29, a146                               // 00000000ADC4: D3D8401D 18000192
	v_mul_f32_e32 v29, v28, v29                                // 00000000ADCC: 0A3A3B1C
	v_accvgpr_write_b32 a146, v29                              // 00000000ADD0: D3D94092 1800011D
	v_accvgpr_read_b32 v29, a147                               // 00000000ADD8: D3D8401D 18000193
	v_mul_f32_e32 v29, v28, v29                                // 00000000ADE0: 0A3A3B1C
	v_accvgpr_write_b32 a147, v29                              // 00000000ADE4: D3D94093 1800011D
	v_accvgpr_read_b32 v29, a148                               // 00000000ADEC: D3D8401D 18000194
	v_mul_f32_e32 v29, v28, v29                                // 00000000ADF4: 0A3A3B1C
	v_accvgpr_write_b32 a148, v29                              // 00000000ADF8: D3D94094 1800011D
	v_accvgpr_read_b32 v29, a149                               // 00000000AE00: D3D8401D 18000195
	v_mul_f32_e32 v29, v28, v29                                // 00000000AE08: 0A3A3B1C
	v_accvgpr_write_b32 a149, v29                              // 00000000AE0C: D3D94095 1800011D
	v_accvgpr_read_b32 v29, a150                               // 00000000AE14: D3D8401D 18000196
	v_mul_f32_e32 v29, v28, v29                                // 00000000AE1C: 0A3A3B1C
	v_accvgpr_write_b32 a150, v29                              // 00000000AE20: D3D94096 1800011D
	v_accvgpr_read_b32 v29, a151                               // 00000000AE28: D3D8401D 18000197
	v_mul_f32_e32 v29, v28, v29                                // 00000000AE30: 0A3A3B1C
	v_accvgpr_write_b32 a151, v29                              // 00000000AE34: D3D94097 1800011D
	v_accvgpr_read_b32 v29, a152                               // 00000000AE3C: D3D8401D 18000198
	v_mul_f32_e32 v29, v28, v29                                // 00000000AE44: 0A3A3B1C
	v_accvgpr_write_b32 a152, v29                              // 00000000AE48: D3D94098 1800011D
	v_accvgpr_read_b32 v29, a153                               // 00000000AE50: D3D8401D 18000199
	v_mul_f32_e32 v29, v28, v29                                // 00000000AE58: 0A3A3B1C
	v_accvgpr_write_b32 a153, v29                              // 00000000AE5C: D3D94099 1800011D
	v_accvgpr_read_b32 v29, a154                               // 00000000AE64: D3D8401D 1800019A
	v_mul_f32_e32 v29, v28, v29                                // 00000000AE6C: 0A3A3B1C
	v_accvgpr_write_b32 a154, v29                              // 00000000AE70: D3D9409A 1800011D
	v_accvgpr_read_b32 v29, a155                               // 00000000AE78: D3D8401D 1800019B
	v_mul_f32_e32 v29, v28, v29                                // 00000000AE80: 0A3A3B1C
	v_accvgpr_write_b32 a155, v29                              // 00000000AE84: D3D9409B 1800011D
	v_accvgpr_read_b32 v29, a156                               // 00000000AE8C: D3D8401D 1800019C
	v_mul_f32_e32 v29, v28, v29                                // 00000000AE94: 0A3A3B1C
	v_accvgpr_write_b32 a156, v29                              // 00000000AE98: D3D9409C 1800011D
	v_accvgpr_read_b32 v29, a157                               // 00000000AEA0: D3D8401D 1800019D
	v_mul_f32_e32 v29, v28, v29                                // 00000000AEA8: 0A3A3B1C
	v_accvgpr_write_b32 a157, v29                              // 00000000AEAC: D3D9409D 1800011D
	v_accvgpr_read_b32 v29, a158                               // 00000000AEB4: D3D8401D 1800019E
	v_mul_f32_e32 v29, v28, v29                                // 00000000AEBC: 0A3A3B1C
	v_accvgpr_write_b32 a158, v29                              // 00000000AEC0: D3D9409E 1800011D
	v_accvgpr_read_b32 v29, a159                               // 00000000AEC8: D3D8401D 1800019F
	v_mul_f32_e32 v29, v28, v29                                // 00000000AED0: 0A3A3B1C
	v_accvgpr_write_b32 a159, v29                              // 00000000AED4: D3D9409F 1800011D
	v_accvgpr_read_b32 v29, a160                               // 00000000AEDC: D3D8401D 180001A0
	v_mul_f32_e32 v29, v28, v29                                // 00000000AEE4: 0A3A3B1C
	v_accvgpr_write_b32 a160, v29                              // 00000000AEE8: D3D940A0 1800011D
	v_accvgpr_read_b32 v29, a161                               // 00000000AEF0: D3D8401D 180001A1
	v_mul_f32_e32 v29, v28, v29                                // 00000000AEF8: 0A3A3B1C
	v_accvgpr_write_b32 a161, v29                              // 00000000AEFC: D3D940A1 1800011D
	v_accvgpr_read_b32 v29, a162                               // 00000000AF04: D3D8401D 180001A2
	v_mul_f32_e32 v29, v28, v29                                // 00000000AF0C: 0A3A3B1C
	v_accvgpr_write_b32 a162, v29                              // 00000000AF10: D3D940A2 1800011D
	v_accvgpr_read_b32 v29, a163                               // 00000000AF18: D3D8401D 180001A3
	v_mul_f32_e32 v29, v28, v29                                // 00000000AF20: 0A3A3B1C
	v_accvgpr_write_b32 a163, v29                              // 00000000AF24: D3D940A3 1800011D
	v_accvgpr_read_b32 v29, a164                               // 00000000AF2C: D3D8401D 180001A4
	v_mul_f32_e32 v29, v28, v29                                // 00000000AF34: 0A3A3B1C
	v_accvgpr_write_b32 a164, v29                              // 00000000AF38: D3D940A4 1800011D
	v_accvgpr_read_b32 v29, a165                               // 00000000AF40: D3D8401D 180001A5
	v_mul_f32_e32 v29, v28, v29                                // 00000000AF48: 0A3A3B1C
	v_accvgpr_write_b32 a165, v29                              // 00000000AF4C: D3D940A5 1800011D
	v_accvgpr_read_b32 v29, a166                               // 00000000AF54: D3D8401D 180001A6
	v_mul_f32_e32 v29, v28, v29                                // 00000000AF5C: 0A3A3B1C
	v_accvgpr_write_b32 a166, v29                              // 00000000AF60: D3D940A6 1800011D
	v_accvgpr_read_b32 v29, a167                               // 00000000AF68: D3D8401D 180001A7
	v_mul_f32_e32 v29, v28, v29                                // 00000000AF70: 0A3A3B1C
	v_accvgpr_write_b32 a167, v29                              // 00000000AF74: D3D940A7 1800011D
	v_accvgpr_read_b32 v29, a168                               // 00000000AF7C: D3D8401D 180001A8
	v_mul_f32_e32 v29, v28, v29                                // 00000000AF84: 0A3A3B1C
	v_accvgpr_write_b32 a168, v29                              // 00000000AF88: D3D940A8 1800011D
	v_accvgpr_read_b32 v29, a169                               // 00000000AF90: D3D8401D 180001A9
	v_mul_f32_e32 v29, v28, v29                                // 00000000AF98: 0A3A3B1C
	v_accvgpr_write_b32 a169, v29                              // 00000000AF9C: D3D940A9 1800011D
	v_accvgpr_read_b32 v29, a170                               // 00000000AFA4: D3D8401D 180001AA
	v_mul_f32_e32 v29, v28, v29                                // 00000000AFAC: 0A3A3B1C
	v_accvgpr_write_b32 a170, v29                              // 00000000AFB0: D3D940AA 1800011D
	v_accvgpr_read_b32 v29, a171                               // 00000000AFB8: D3D8401D 180001AB
	v_mul_f32_e32 v29, v28, v29                                // 00000000AFC0: 0A3A3B1C
	v_accvgpr_write_b32 a171, v29                              // 00000000AFC4: D3D940AB 1800011D
	v_accvgpr_read_b32 v29, a172                               // 00000000AFCC: D3D8401D 180001AC
	v_mul_f32_e32 v29, v28, v29                                // 00000000AFD4: 0A3A3B1C
	v_accvgpr_write_b32 a172, v29                              // 00000000AFD8: D3D940AC 1800011D
	v_accvgpr_read_b32 v29, a173                               // 00000000AFE0: D3D8401D 180001AD
	v_mul_f32_e32 v29, v28, v29                                // 00000000AFE8: 0A3A3B1C
	v_accvgpr_write_b32 a173, v29                              // 00000000AFEC: D3D940AD 1800011D
	v_accvgpr_read_b32 v29, a174                               // 00000000AFF4: D3D8401D 180001AE
	v_mul_f32_e32 v29, v28, v29                                // 00000000AFFC: 0A3A3B1C
	v_accvgpr_write_b32 a174, v29                              // 00000000B000: D3D940AE 1800011D
	v_accvgpr_read_b32 v29, a175                               // 00000000B008: D3D8401D 180001AF
	v_mul_f32_e32 v29, v28, v29                                // 00000000B010: 0A3A3B1C
	v_accvgpr_write_b32 a175, v29                              // 00000000B014: D3D940AF 1800011D
	v_accvgpr_read_b32 v29, a176                               // 00000000B01C: D3D8401D 180001B0
	v_mul_f32_e32 v29, v28, v29                                // 00000000B024: 0A3A3B1C
	v_accvgpr_write_b32 a176, v29                              // 00000000B028: D3D940B0 1800011D
	v_accvgpr_read_b32 v29, a177                               // 00000000B030: D3D8401D 180001B1
	v_mul_f32_e32 v29, v28, v29                                // 00000000B038: 0A3A3B1C
	v_accvgpr_write_b32 a177, v29                              // 00000000B03C: D3D940B1 1800011D
	v_accvgpr_read_b32 v29, a178                               // 00000000B044: D3D8401D 180001B2
	v_mul_f32_e32 v29, v28, v29                                // 00000000B04C: 0A3A3B1C
	v_accvgpr_write_b32 a178, v29                              // 00000000B050: D3D940B2 1800011D
	v_accvgpr_read_b32 v29, a179                               // 00000000B058: D3D8401D 180001B3
	v_mul_f32_e32 v29, v28, v29                                // 00000000B060: 0A3A3B1C
	v_accvgpr_write_b32 a179, v29                              // 00000000B064: D3D940B3 1800011D
	v_accvgpr_read_b32 v29, a180                               // 00000000B06C: D3D8401D 180001B4
	v_mul_f32_e32 v29, v28, v29                                // 00000000B074: 0A3A3B1C
	v_accvgpr_write_b32 a180, v29                              // 00000000B078: D3D940B4 1800011D
	v_accvgpr_read_b32 v29, a181                               // 00000000B080: D3D8401D 180001B5
	v_mul_f32_e32 v29, v28, v29                                // 00000000B088: 0A3A3B1C
	v_accvgpr_write_b32 a181, v29                              // 00000000B08C: D3D940B5 1800011D
	v_accvgpr_read_b32 v29, a182                               // 00000000B094: D3D8401D 180001B6
	v_mul_f32_e32 v29, v28, v29                                // 00000000B09C: 0A3A3B1C
	v_accvgpr_write_b32 a182, v29                              // 00000000B0A0: D3D940B6 1800011D
	v_accvgpr_read_b32 v29, a183                               // 00000000B0A8: D3D8401D 180001B7
	v_mul_f32_e32 v29, v28, v29                                // 00000000B0B0: 0A3A3B1C
	v_accvgpr_write_b32 a183, v29                              // 00000000B0B4: D3D940B7 1800011D
	v_accvgpr_read_b32 v29, a184                               // 00000000B0BC: D3D8401D 180001B8
	v_mul_f32_e32 v29, v28, v29                                // 00000000B0C4: 0A3A3B1C
	v_accvgpr_write_b32 a184, v29                              // 00000000B0C8: D3D940B8 1800011D
	v_accvgpr_read_b32 v29, a185                               // 00000000B0D0: D3D8401D 180001B9
	v_mul_f32_e32 v29, v28, v29                                // 00000000B0D8: 0A3A3B1C
	v_accvgpr_write_b32 a185, v29                              // 00000000B0DC: D3D940B9 1800011D
	v_accvgpr_read_b32 v29, a186                               // 00000000B0E4: D3D8401D 180001BA
	v_mul_f32_e32 v29, v28, v29                                // 00000000B0EC: 0A3A3B1C
	v_accvgpr_write_b32 a186, v29                              // 00000000B0F0: D3D940BA 1800011D
	v_accvgpr_read_b32 v29, a187                               // 00000000B0F8: D3D8401D 180001BB
	v_mul_f32_e32 v29, v28, v29                                // 00000000B100: 0A3A3B1C
	v_accvgpr_write_b32 a187, v29                              // 00000000B104: D3D940BB 1800011D
	v_accvgpr_read_b32 v29, a188                               // 00000000B10C: D3D8401D 180001BC
	v_mul_f32_e32 v29, v28, v29                                // 00000000B114: 0A3A3B1C
	v_accvgpr_write_b32 a188, v29                              // 00000000B118: D3D940BC 1800011D
	v_accvgpr_read_b32 v29, a189                               // 00000000B120: D3D8401D 180001BD
	v_mul_f32_e32 v29, v28, v29                                // 00000000B128: 0A3A3B1C
	v_accvgpr_write_b32 a189, v29                              // 00000000B12C: D3D940BD 1800011D
	v_accvgpr_read_b32 v29, a190                               // 00000000B134: D3D8401D 180001BE
	v_mul_f32_e32 v29, v28, v29                                // 00000000B13C: 0A3A3B1C
	v_accvgpr_write_b32 a190, v29                              // 00000000B140: D3D940BE 1800011D
	v_accvgpr_read_b32 v29, a191                               // 00000000B148: D3D8401D 180001BF
	v_mul_f32_e32 v29, v28, v29                                // 00000000B150: 0A3A3B1C
	v_accvgpr_write_b32 a191, v29                              // 00000000B154: D3D940BF 1800011D
	v_accvgpr_read_b32 v29, a192                               // 00000000B15C: D3D8401D 180001C0
	v_mul_f32_e32 v29, v28, v29                                // 00000000B164: 0A3A3B1C
	v_accvgpr_write_b32 a192, v29                              // 00000000B168: D3D940C0 1800011D
	v_accvgpr_read_b32 v29, a193                               // 00000000B170: D3D8401D 180001C1
	v_mul_f32_e32 v29, v28, v29                                // 00000000B178: 0A3A3B1C
	v_accvgpr_write_b32 a193, v29                              // 00000000B17C: D3D940C1 1800011D
	v_accvgpr_read_b32 v29, a194                               // 00000000B184: D3D8401D 180001C2
	v_mul_f32_e32 v29, v28, v29                                // 00000000B18C: 0A3A3B1C
	v_accvgpr_write_b32 a194, v29                              // 00000000B190: D3D940C2 1800011D
	v_accvgpr_read_b32 v29, a195                               // 00000000B198: D3D8401D 180001C3
	v_mul_f32_e32 v29, v28, v29                                // 00000000B1A0: 0A3A3B1C
	v_accvgpr_write_b32 a195, v29                              // 00000000B1A4: D3D940C3 1800011D
	v_accvgpr_read_b32 v29, a196                               // 00000000B1AC: D3D8401D 180001C4
	v_mul_f32_e32 v29, v28, v29                                // 00000000B1B4: 0A3A3B1C
	v_accvgpr_write_b32 a196, v29                              // 00000000B1B8: D3D940C4 1800011D
	v_accvgpr_read_b32 v29, a197                               // 00000000B1C0: D3D8401D 180001C5
	v_mul_f32_e32 v29, v28, v29                                // 00000000B1C8: 0A3A3B1C
	v_accvgpr_write_b32 a197, v29                              // 00000000B1CC: D3D940C5 1800011D
	v_accvgpr_read_b32 v29, a198                               // 00000000B1D4: D3D8401D 180001C6
	v_mul_f32_e32 v29, v28, v29                                // 00000000B1DC: 0A3A3B1C
	v_accvgpr_write_b32 a198, v29                              // 00000000B1E0: D3D940C6 1800011D
	v_accvgpr_read_b32 v29, a199                               // 00000000B1E8: D3D8401D 180001C7
	v_mul_f32_e32 v29, v28, v29                                // 00000000B1F0: 0A3A3B1C
	v_accvgpr_write_b32 a199, v29                              // 00000000B1F4: D3D940C7 1800011D
	v_accvgpr_read_b32 v29, a200                               // 00000000B1FC: D3D8401D 180001C8
	v_mul_f32_e32 v29, v28, v29                                // 00000000B204: 0A3A3B1C
	v_accvgpr_write_b32 a200, v29                              // 00000000B208: D3D940C8 1800011D
	v_accvgpr_read_b32 v29, a201                               // 00000000B210: D3D8401D 180001C9
	v_mul_f32_e32 v29, v28, v29                                // 00000000B218: 0A3A3B1C
	v_accvgpr_write_b32 a201, v29                              // 00000000B21C: D3D940C9 1800011D
	v_accvgpr_read_b32 v29, a202                               // 00000000B224: D3D8401D 180001CA
	v_mul_f32_e32 v29, v28, v29                                // 00000000B22C: 0A3A3B1C
	v_accvgpr_write_b32 a202, v29                              // 00000000B230: D3D940CA 1800011D
	v_accvgpr_read_b32 v29, a203                               // 00000000B238: D3D8401D 180001CB
	v_mul_f32_e32 v29, v28, v29                                // 00000000B240: 0A3A3B1C
	v_accvgpr_write_b32 a203, v29                              // 00000000B244: D3D940CB 1800011D
	v_accvgpr_read_b32 v29, a204                               // 00000000B24C: D3D8401D 180001CC
	v_mul_f32_e32 v29, v28, v29                                // 00000000B254: 0A3A3B1C
	v_accvgpr_write_b32 a204, v29                              // 00000000B258: D3D940CC 1800011D
	v_accvgpr_read_b32 v29, a205                               // 00000000B260: D3D8401D 180001CD
	v_mul_f32_e32 v29, v28, v29                                // 00000000B268: 0A3A3B1C
	v_accvgpr_write_b32 a205, v29                              // 00000000B26C: D3D940CD 1800011D
	v_accvgpr_read_b32 v29, a206                               // 00000000B274: D3D8401D 180001CE
	v_mul_f32_e32 v29, v28, v29                                // 00000000B27C: 0A3A3B1C
	v_accvgpr_write_b32 a206, v29                              // 00000000B280: D3D940CE 1800011D
	v_accvgpr_read_b32 v29, a207                               // 00000000B288: D3D8401D 180001CF
	v_mul_f32_e32 v29, v28, v29                                // 00000000B290: 0A3A3B1C
	v_accvgpr_write_b32 a207, v29                              // 00000000B294: D3D940CF 1800011D
	v_accvgpr_read_b32 v29, a208                               // 00000000B29C: D3D8401D 180001D0
	v_mul_f32_e32 v29, v28, v29                                // 00000000B2A4: 0A3A3B1C
	v_accvgpr_write_b32 a208, v29                              // 00000000B2A8: D3D940D0 1800011D
	v_accvgpr_read_b32 v29, a209                               // 00000000B2B0: D3D8401D 180001D1
	v_mul_f32_e32 v29, v28, v29                                // 00000000B2B8: 0A3A3B1C
	v_accvgpr_write_b32 a209, v29                              // 00000000B2BC: D3D940D1 1800011D
	v_accvgpr_read_b32 v29, a210                               // 00000000B2C4: D3D8401D 180001D2
	v_mul_f32_e32 v29, v28, v29                                // 00000000B2CC: 0A3A3B1C
	v_accvgpr_write_b32 a210, v29                              // 00000000B2D0: D3D940D2 1800011D
	v_accvgpr_read_b32 v29, a211                               // 00000000B2D8: D3D8401D 180001D3
	v_mul_f32_e32 v29, v28, v29                                // 00000000B2E0: 0A3A3B1C
	v_accvgpr_write_b32 a211, v29                              // 00000000B2E4: D3D940D3 1800011D
	v_accvgpr_read_b32 v29, a212                               // 00000000B2EC: D3D8401D 180001D4
	v_mul_f32_e32 v29, v28, v29                                // 00000000B2F4: 0A3A3B1C
	v_accvgpr_write_b32 a212, v29                              // 00000000B2F8: D3D940D4 1800011D
	v_accvgpr_read_b32 v29, a213                               // 00000000B300: D3D8401D 180001D5
	v_mul_f32_e32 v29, v28, v29                                // 00000000B308: 0A3A3B1C
	v_accvgpr_write_b32 a213, v29                              // 00000000B30C: D3D940D5 1800011D
	v_accvgpr_read_b32 v29, a214                               // 00000000B314: D3D8401D 180001D6
	v_mul_f32_e32 v29, v28, v29                                // 00000000B31C: 0A3A3B1C
	v_accvgpr_write_b32 a214, v29                              // 00000000B320: D3D940D6 1800011D
	v_accvgpr_read_b32 v29, a215                               // 00000000B328: D3D8401D 180001D7
	v_mul_f32_e32 v29, v28, v29                                // 00000000B330: 0A3A3B1C
	v_accvgpr_write_b32 a215, v29                              // 00000000B334: D3D940D7 1800011D
	v_accvgpr_read_b32 v29, a216                               // 00000000B33C: D3D8401D 180001D8
	v_mul_f32_e32 v29, v28, v29                                // 00000000B344: 0A3A3B1C
	v_accvgpr_write_b32 a216, v29                              // 00000000B348: D3D940D8 1800011D
	v_accvgpr_read_b32 v29, a217                               // 00000000B350: D3D8401D 180001D9
	v_mul_f32_e32 v29, v28, v29                                // 00000000B358: 0A3A3B1C
	v_accvgpr_write_b32 a217, v29                              // 00000000B35C: D3D940D9 1800011D
	v_accvgpr_read_b32 v29, a218                               // 00000000B364: D3D8401D 180001DA
	v_mul_f32_e32 v29, v28, v29                                // 00000000B36C: 0A3A3B1C
	v_accvgpr_write_b32 a218, v29                              // 00000000B370: D3D940DA 1800011D
	v_accvgpr_read_b32 v29, a219                               // 00000000B378: D3D8401D 180001DB
	v_mul_f32_e32 v29, v28, v29                                // 00000000B380: 0A3A3B1C
	v_accvgpr_write_b32 a219, v29                              // 00000000B384: D3D940DB 1800011D
	v_accvgpr_read_b32 v29, a220                               // 00000000B38C: D3D8401D 180001DC
	v_mul_f32_e32 v29, v28, v29                                // 00000000B394: 0A3A3B1C
	v_accvgpr_write_b32 a220, v29                              // 00000000B398: D3D940DC 1800011D
	v_accvgpr_read_b32 v29, a221                               // 00000000B3A0: D3D8401D 180001DD
	v_mul_f32_e32 v29, v28, v29                                // 00000000B3A8: 0A3A3B1C
	v_accvgpr_write_b32 a221, v29                              // 00000000B3AC: D3D940DD 1800011D
	v_accvgpr_read_b32 v29, a222                               // 00000000B3B4: D3D8401D 180001DE
	v_mul_f32_e32 v29, v28, v29                                // 00000000B3BC: 0A3A3B1C
	v_accvgpr_write_b32 a222, v29                              // 00000000B3C0: D3D940DE 1800011D
	v_accvgpr_read_b32 v29, a223                               // 00000000B3C8: D3D8401D 180001DF
	v_mul_f32_e32 v29, v28, v29                                // 00000000B3D0: 0A3A3B1C
	v_accvgpr_write_b32 a223, v29                              // 00000000B3D4: D3D940DF 1800011D
	v_accvgpr_read_b32 v29, a224                               // 00000000B3DC: D3D8401D 180001E0
	v_mul_f32_e32 v29, v28, v29                                // 00000000B3E4: 0A3A3B1C
	v_accvgpr_write_b32 a224, v29                              // 00000000B3E8: D3D940E0 1800011D
	v_accvgpr_read_b32 v29, a225                               // 00000000B3F0: D3D8401D 180001E1
	v_mul_f32_e32 v29, v28, v29                                // 00000000B3F8: 0A3A3B1C
	v_accvgpr_write_b32 a225, v29                              // 00000000B3FC: D3D940E1 1800011D
	v_accvgpr_read_b32 v29, a226                               // 00000000B404: D3D8401D 180001E2
	v_mul_f32_e32 v29, v28, v29                                // 00000000B40C: 0A3A3B1C
	v_accvgpr_write_b32 a226, v29                              // 00000000B410: D3D940E2 1800011D
	v_accvgpr_read_b32 v29, a227                               // 00000000B418: D3D8401D 180001E3
	v_mul_f32_e32 v29, v28, v29                                // 00000000B420: 0A3A3B1C
	v_accvgpr_write_b32 a227, v29                              // 00000000B424: D3D940E3 1800011D
	v_accvgpr_read_b32 v29, a228                               // 00000000B42C: D3D8401D 180001E4
	v_mul_f32_e32 v29, v28, v29                                // 00000000B434: 0A3A3B1C
	v_accvgpr_write_b32 a228, v29                              // 00000000B438: D3D940E4 1800011D
	v_accvgpr_read_b32 v29, a229                               // 00000000B440: D3D8401D 180001E5
	v_mul_f32_e32 v29, v28, v29                                // 00000000B448: 0A3A3B1C
	v_accvgpr_write_b32 a229, v29                              // 00000000B44C: D3D940E5 1800011D
	v_accvgpr_read_b32 v29, a230                               // 00000000B454: D3D8401D 180001E6
	v_mul_f32_e32 v29, v28, v29                                // 00000000B45C: 0A3A3B1C
	v_accvgpr_write_b32 a230, v29                              // 00000000B460: D3D940E6 1800011D
	v_accvgpr_read_b32 v29, a231                               // 00000000B468: D3D8401D 180001E7
	v_mul_f32_e32 v29, v28, v29                                // 00000000B470: 0A3A3B1C
	v_accvgpr_write_b32 a231, v29                              // 00000000B474: D3D940E7 1800011D
	v_accvgpr_read_b32 v29, a232                               // 00000000B47C: D3D8401D 180001E8
	v_mul_f32_e32 v29, v28, v29                                // 00000000B484: 0A3A3B1C
	v_accvgpr_write_b32 a232, v29                              // 00000000B488: D3D940E8 1800011D
	v_accvgpr_read_b32 v29, a233                               // 00000000B490: D3D8401D 180001E9
	v_mul_f32_e32 v29, v28, v29                                // 00000000B498: 0A3A3B1C
	v_accvgpr_write_b32 a233, v29                              // 00000000B49C: D3D940E9 1800011D
	v_accvgpr_read_b32 v29, a234                               // 00000000B4A4: D3D8401D 180001EA
	v_mul_f32_e32 v29, v28, v29                                // 00000000B4AC: 0A3A3B1C
	v_accvgpr_write_b32 a234, v29                              // 00000000B4B0: D3D940EA 1800011D
	v_accvgpr_read_b32 v29, a235                               // 00000000B4B8: D3D8401D 180001EB
	v_mul_f32_e32 v29, v28, v29                                // 00000000B4C0: 0A3A3B1C
	v_accvgpr_write_b32 a235, v29                              // 00000000B4C4: D3D940EB 1800011D
	v_accvgpr_read_b32 v29, a236                               // 00000000B4CC: D3D8401D 180001EC
	v_mul_f32_e32 v29, v28, v29                                // 00000000B4D4: 0A3A3B1C
	v_accvgpr_write_b32 a236, v29                              // 00000000B4D8: D3D940EC 1800011D
	v_accvgpr_read_b32 v29, a237                               // 00000000B4E0: D3D8401D 180001ED
	v_mul_f32_e32 v29, v28, v29                                // 00000000B4E8: 0A3A3B1C
	v_accvgpr_write_b32 a237, v29                              // 00000000B4EC: D3D940ED 1800011D
	v_accvgpr_read_b32 v29, a238                               // 00000000B4F4: D3D8401D 180001EE
	v_mul_f32_e32 v29, v28, v29                                // 00000000B4FC: 0A3A3B1C
	v_accvgpr_write_b32 a238, v29                              // 00000000B500: D3D940EE 1800011D
	v_accvgpr_read_b32 v29, a239                               // 00000000B508: D3D8401D 180001EF
	v_mul_f32_e32 v29, v28, v29                                // 00000000B510: 0A3A3B1C
	v_accvgpr_write_b32 a239, v29                              // 00000000B514: D3D940EF 1800011D
	s_waitcnt lgkmcnt(0)                                       // 00000000B51C: BF8CC07F
	v_mfma_f32_32x32x64_f8f6f4 v[64:79], a[72:79], v[32:39], v[64:79]// 00000000B520: D3AE0040 0D024148
	ds_read_b64_tr_b8 a[72:73], v5 offset:4096                 // 00000000B528: DBC41000 48000005
	ds_read_b64_tr_b8 a[74:75], v6 offset:4096                 // 00000000B530: DBC41000 4A000006
	ds_read_b64_tr_b8 a[76:77], v5 offset:22528                // 00000000B538: DBC45800 4C000005
	ds_read_b64_tr_b8 a[78:79], v6 offset:22528                // 00000000B540: DBC45800 4E000006
	v_mfma_f32_32x32x64_f8f6f4 v[80:95], a[80:87], v[32:39], v[80:95]// 00000000B548: D3AE0050 0D424150
	ds_read_b64_tr_b8 a[80:81], v7 offset:4096                 // 00000000B550: DBC41000 50000007
	ds_read_b64_tr_b8 a[82:83], v8 offset:4096                 // 00000000B558: DBC41000 52000008
	ds_read_b64_tr_b8 a[84:85], v7 offset:22528                // 00000000B560: DBC45800 54000007
	ds_read_b64_tr_b8 a[86:87], v8 offset:22528                // 00000000B568: DBC45800 56000008
	v_mfma_f32_32x32x64_f8f6f4 v[96:111], a[88:95], v[32:39], v[96:111]// 00000000B570: D3AE0060 0D824158
	ds_read_b64_tr_b8 a[88:89], v5 offset:5120                 // 00000000B578: DBC41400 58000005
	ds_read_b64_tr_b8 a[90:91], v6 offset:5120                 // 00000000B580: DBC41400 5A000006
	ds_read_b64_tr_b8 a[92:93], v5 offset:23552                // 00000000B588: DBC45C00 5C000005
	ds_read_b64_tr_b8 a[94:95], v6 offset:23552                // 00000000B590: DBC45C00 5E000006
	v_mfma_f32_32x32x64_f8f6f4 v[112:127], a[96:103], v[32:39], v[112:127]// 00000000B598: D3AE0070 0DC24160
	ds_read_b64_tr_b8 a[96:97], v7 offset:5120                 // 00000000B5A0: DBC41400 60000007
	ds_read_b64_tr_b8 a[98:99], v8 offset:5120                 // 00000000B5A8: DBC41400 62000008
	ds_read_b64_tr_b8 a[100:101], v7 offset:23552              // 00000000B5B0: DBC45C00 64000007
	ds_read_b64_tr_b8 a[102:103], v8 offset:23552              // 00000000B5B8: DBC45C00 66000008
	v_mfma_f32_32x32x64_f8f6f4 v[128:143], a[104:111], v[32:39], v[128:143]// 00000000B5C0: D3AE0080 0E024168
	ds_read_b64_tr_b8 a[104:105], v5 offset:6144               // 00000000B5C8: DBC41800 68000005
	ds_read_b64_tr_b8 a[106:107], v6 offset:6144               // 00000000B5D0: DBC41800 6A000006
	ds_read_b64_tr_b8 a[108:109], v5 offset:24576              // 00000000B5D8: DBC46000 6C000005
	ds_read_b64_tr_b8 a[110:111], v6 offset:24576              // 00000000B5E0: DBC46000 6E000006
	v_mfma_f32_32x32x64_f8f6f4 v[144:159], a[112:119], v[32:39], v[144:159]// 00000000B5E8: D3AE0090 0E424170
	ds_read_b64_tr_b8 a[112:113], v7 offset:6144               // 00000000B5F0: DBC41800 70000007
	ds_read_b64_tr_b8 a[114:115], v8 offset:6144               // 00000000B5F8: DBC41800 72000008
	ds_read_b64_tr_b8 a[116:117], v7 offset:24576              // 00000000B600: DBC46000 74000007
	ds_read_b64_tr_b8 a[118:119], v8 offset:24576              // 00000000B608: DBC46000 76000008
	v_mfma_f32_32x32x64_f8f6f4 v[160:175], a[120:127], v[32:39], v[160:175]// 00000000B610: D3AE00A0 0E824178
	ds_read_b64_tr_b8 a[120:121], v5 offset:7168               // 00000000B618: DBC41C00 78000005
	ds_read_b64_tr_b8 a[122:123], v6 offset:7168               // 00000000B620: DBC41C00 7A000006
	ds_read_b64_tr_b8 a[124:125], v5 offset:25600              // 00000000B628: DBC46400 7C000005
	ds_read_b64_tr_b8 a[126:127], v6 offset:25600              // 00000000B630: DBC46400 7E000006
	v_mfma_f32_32x32x64_f8f6f4 v[176:191], a[128:135], v[32:39], v[176:191]// 00000000B638: D3AE00B0 0EC24180
	ds_read_b64_tr_b8 a[128:129], v7 offset:7168               // 00000000B640: DBC41C00 80000007
	ds_read_b64_tr_b8 a[130:131], v8 offset:7168               // 00000000B648: DBC41C00 82000008
	ds_read_b64_tr_b8 a[132:133], v7 offset:25600              // 00000000B650: DBC46400 84000007
	ds_read_b64_tr_b8 a[134:135], v8 offset:25600              // 00000000B658: DBC46400 86000008
	s_waitcnt lgkmcnt(0)                                       // 00000000B660: BF8CC07F
	v_mfma_f32_32x32x64_f8f6f4 v[192:207], a[72:79], v[32:39], v[192:207]// 00000000B664: D3AE00C0 0F024148
	v_mfma_f32_32x32x64_f8f6f4 v[208:223], a[80:87], v[32:39], v[208:223]// 00000000B66C: D3AE00D0 0F424150
	s_waitcnt vmcnt(10)                                        // 00000000B674: BF8C0F7A
	s_barrier                                                  // 00000000B678: BF8A0000
	ds_read_b128 a[72:75], v20                                 // 00000000B67C: DBFE0000 48000014
	ds_read_b128 a[76:79], v21                                 // 00000000B684: DBFE0000 4C000015
	v_mfma_f32_32x32x64_f8f6f4 a[144:159], a[88:95], v[32:39], a[144:159]// 00000000B68C: D3AE8090 0E424158
	ds_read_b128 a[80:83], v20 offset:1024                     // 00000000B694: DBFE0400 50000014
	ds_read_b128 a[84:87], v21 offset:1024                     // 00000000B69C: DBFE0400 54000015
	v_mfma_f32_32x32x64_f8f6f4 a[160:175], a[96:103], v[32:39], a[160:175]// 00000000B6A4: D3AE80A0 0E824160
	ds_read_b128 a[88:91], v20 offset:2048                     // 00000000B6AC: DBFE0800 58000014
	ds_read_b128 a[92:95], v21 offset:2048                     // 00000000B6B4: DBFE0800 5C000015
	v_mfma_f32_32x32x64_f8f6f4 a[176:191], a[104:111], v[32:39], a[176:191]// 00000000B6BC: D3AE80B0 0EC24168
	ds_read_b128 a[96:99], v20 offset:3072                     // 00000000B6C4: DBFE0C00 60000014
	ds_read_b128 a[100:103], v21 offset:3072                   // 00000000B6CC: DBFE0C00 64000015
	v_mfma_f32_32x32x64_f8f6f4 a[192:207], a[112:119], v[32:39], a[192:207]// 00000000B6D4: D3AE80C0 0F024170
	ds_read_b128 a[104:107], v20 offset:4096                   // 00000000B6DC: DBFE1000 68000014
	ds_read_b128 a[108:111], v21 offset:4096                   // 00000000B6E4: DBFE1000 6C000015
	v_mfma_f32_32x32x64_f8f6f4 a[208:223], a[120:127], v[32:39], a[208:223]// 00000000B6EC: D3AE80D0 0F424178
	ds_read_b128 a[112:115], v20 offset:5120                   // 00000000B6F4: DBFE1400 70000014
	ds_read_b128 a[116:119], v21 offset:5120                   // 00000000B6FC: DBFE1400 74000015
	v_mfma_f32_32x32x64_f8f6f4 a[224:239], a[128:135], v[32:39], a[224:239]// 00000000B704: D3AE80E0 0F824180
	ds_read_b128 a[120:123], v20 offset:6144                   // 00000000B70C: DBFE1800 78000014
	ds_read_b128 a[124:127], v21 offset:6144                   // 00000000B714: DBFE1800 7C000015
	ds_read_b128 a[128:131], v20 offset:7168                   // 00000000B71C: DBFE1C00 80000014
	ds_read_b128 a[132:135], v21 offset:7168                   // 00000000B724: DBFE1C00 84000015
	ds_read_b128 a[136:139], v20 offset:8192                   // 00000000B72C: DBFE2000 88000014
	ds_read_b128 a[140:143], v21 offset:8192                   // 00000000B734: DBFE2000 8C000015
	s_addk_i32 s70, 0x1                                        // 00000000B73C: B7460001
	s_cmp_lt_i32 s70, s71                                      // 00000000B740: BF044746
	s_cbranch_scc0 label_529C                                  // 00000000B744: BF84EF95
	s_branch label_52A8                                        // 00000000B748: BF82EF97

000000000000b74c <label_944C>:
	s_cmp_eq_i32 s48, 0                                        // 00000000B74C: BF008030
	s_cbranch_scc1 label_DE04                                  // 00000000B750: BF8511EA

000000000000b754 <label_9454>:
	s_mov_b32 s37, 3                                           // 00000000B754: BEA50083
	s_mov_b32 s36, s71                                         // 00000000B758: BEA40047
	v_cvt_f32_u32_e32 v28, s37                                 // 00000000B75C: 7E380C25
	s_sub_i32 s56, 0, s37                                      // 00000000B760: 81B82580
	v_rcp_iflag_f32_e32 v28, v28                               // 00000000B764: 7E38471C
	s_nop 0                                                    // 00000000B768: BF800000
	v_mul_f32_e32 v28, 0x4f7ffffe, v28                         // 00000000B76C: 0A3838FF 4F7FFFFE
	v_cvt_u32_f32_e32 v28, v28                                 // 00000000B774: 7E380F1C
	v_mul_lo_u32 v29, s56, v28                                 // 00000000B778: D285001D 00023838
	v_mul_hi_u32 v29, v28, v29                                 // 00000000B780: D286001D 00023B1C
	v_add_u32_e32 v28, v28, v29                                // 00000000B788: 68383B1C
	v_mul_hi_u32 v28, s36, v28                                 // 00000000B78C: D286001C 00023824
	v_mul_lo_u32 v29, v28, s37                                 // 00000000B794: D285001D 00004B1C
	v_sub_u32_e32 v31, s36, v29                                // 00000000B79C: 6A3E3A24
	v_add_u32_e32 v30, 1, v28                                  // 00000000B7A0: 683C3881
	v_cmp_le_u32_e32 vcc, s37, v31                             // 00000000B7A4: 7D963E25
	v_subrev_u32_e32 v29, s37, v31                             // 00000000B7A8: 6C3A3E25
	s_nop 0                                                    // 00000000B7AC: BF800000
	v_cndmask_b32_e32 v28, v28, v30, vcc                       // 00000000B7B0: 00383D1C
	v_cndmask_b32_e32 v31, v31, v29, vcc                       // 00000000B7B4: 003E3B1F
	v_add_u32_e32 v29, 1, v28                                  // 00000000B7B8: 683A3881
	v_cmp_le_u32_e32 vcc, s37, v31                             // 00000000B7BC: 7D963E25
	s_nop 1                                                    // 00000000B7C0: BF800001
	v_cndmask_b32_e32 v31, v28, v29, vcc                       // 00000000B7C4: 003E3B1C
	s_nop 3                                                    // 00000000B7C8: BF800003
	v_readfirstlane_b32 s38, v31                               // 00000000B7CC: 7E4C051F
	s_nop 3                                                    // 00000000B7D0: BF800003
	s_mul_i32 s56, s38, 3                                      // 00000000B7D4: 92388326
	s_sub_u32 s56, s71, s56                                    // 00000000B7D8: 80B83847
	s_cmp_eq_i32 s56, 1                                        // 00000000B7DC: BF008138
	s_cbranch_scc1 label_C44C                                  // 00000000B7E0: BF850BDA
	s_cmp_eq_i32 s56, 0                                        // 00000000B7E4: BF008038
	s_cbranch_scc1 label_AC9C                                  // 00000000B7E8: BF8505EC
	s_waitcnt lgkmcnt(4)                                       // 00000000B7EC: BF8CC47F
	v_mfma_f32_32x32x64_f8f6f4 v[32:47], a[72:79], a[0:7], 0   // 00000000B7F0: D3AE0020 1A020148
	v_mfma_f32_32x32x64_f8f6f4 v[32:47], a[80:87], a[8:15], v[32:47]// 00000000B7F8: D3AE0020 1C821150
	v_mfma_f32_32x32x64_f8f6f4 v[32:47], a[88:95], a[16:23], v[32:47]// 00000000B800: D3AE0020 1C822158
	ds_read_b128 a[72:75], v18 offset:18432                    // 00000000B808: DBFE4800 48000012
	ds_read_b128 a[76:79], v19 offset:18432                    // 00000000B810: DBFE4800 4C000013
	v_mfma_f32_32x32x64_f8f6f4 v[32:47], a[96:103], a[24:31], v[32:47]// 00000000B818: D3AE0020 1C823160
	ds_read_b128 a[80:83], v18 offset:19456                    // 00000000B820: DBFE4C00 50000012
	ds_read_b128 a[84:87], v19 offset:19456                    // 00000000B828: DBFE4C00 54000013
	v_mfma_f32_32x32x64_f8f6f4 v[32:47], a[104:111], a[32:39], v[32:47]// 00000000B830: D3AE0020 1C824168
	ds_read_b128 a[88:91], v18 offset:20480                    // 00000000B838: DBFE5000 58000012
	ds_read_b128 a[92:95], v19 offset:20480                    // 00000000B840: DBFE5000 5C000013
	v_mfma_f32_32x32x64_f8f6f4 v[32:47], a[112:119], a[40:47], v[32:47]// 00000000B848: D3AE0020 1C825170
	ds_read_b128 a[96:99], v18 offset:21504                    // 00000000B850: DBFE5400 60000012
	ds_read_b128 a[100:103], v19 offset:21504                  // 00000000B858: DBFE5400 64000013
	v_mfma_f32_32x32x64_f8f6f4 v[32:47], a[120:127], a[48:55], v[32:47]// 00000000B860: D3AE0020 1C826178
	ds_read_b128 a[104:107], v18 offset:22528                  // 00000000B868: DBFE5800 68000012
	ds_read_b128 a[108:111], v19 offset:22528                  // 00000000B870: DBFE5800 6C000013
	v_mfma_f32_32x32x64_f8f6f4 v[32:47], a[128:135], a[56:63], v[32:47]// 00000000B878: D3AE0020 1C827180
	ds_read_b128 a[112:115], v18 offset:23552                  // 00000000B880: DBFE5C00 70000012
	ds_read_b128 a[116:119], v19 offset:23552                  // 00000000B888: DBFE5C00 74000013
	v_mfma_f32_32x32x64_f8f6f4 v[32:47], a[136:143], a[64:71], v[32:47]// 00000000B890: D3AE0020 1C828188
	ds_read_b128 a[120:123], v18 offset:24576                  // 00000000B898: DBFE6000 78000012
	ds_read_b128 a[124:127], v19 offset:24576                  // 00000000B8A0: DBFE6000 7C000013
	ds_read_b128 a[128:131], v18 offset:25600                  // 00000000B8A8: DBFE6400 80000012
	ds_read_b128 a[132:135], v19 offset:25600                  // 00000000B8B0: DBFE6400 84000013
	ds_read_b128 a[136:139], v18 offset:26624                  // 00000000B8B8: DBFE6800 88000012
	ds_read_b128 a[140:143], v19 offset:26624                  // 00000000B8C0: DBFE6800 8C000013
	s_waitcnt lgkmcnt(4)                                       // 00000000B8C8: BF8CC47F
	v_mfma_f32_32x32x64_f8f6f4 v[48:63], a[72:79], a[0:7], 0   // 00000000B8CC: D3AE0030 1A020148
	v_mfma_f32_32x32x64_f8f6f4 v[48:63], a[80:87], a[8:15], v[48:63]// 00000000B8D4: D3AE0030 1CC21150
	v_mfma_f32_32x32x64_f8f6f4 v[48:63], a[88:95], a[16:23], v[48:63]// 00000000B8DC: D3AE0030 1CC22158
	ds_read_b64_tr_b8 a[72:73], v5                             // 00000000B8E4: DBC40000 48000005
	ds_read_b64_tr_b8 a[74:75], v6                             // 00000000B8EC: DBC40000 4A000006
	ds_read_b64_tr_b8 a[76:77], v5 offset:18432                // 00000000B8F4: DBC44800 4C000005
	ds_read_b64_tr_b8 a[78:79], v6 offset:18432                // 00000000B8FC: DBC44800 4E000006
	v_mfma_f32_32x32x64_f8f6f4 v[48:63], a[96:103], a[24:31], v[48:63]// 00000000B904: D3AE0030 1CC23160
	ds_read_b64_tr_b8 a[80:81], v7                             // 00000000B90C: DBC40000 50000007
	ds_read_b64_tr_b8 a[82:83], v8                             // 00000000B914: DBC40000 52000008
	ds_read_b64_tr_b8 a[84:85], v7 offset:18432                // 00000000B91C: DBC44800 54000007
	ds_read_b64_tr_b8 a[86:87], v8 offset:18432                // 00000000B924: DBC44800 56000008
	v_mfma_f32_32x32x64_f8f6f4 v[48:63], a[104:111], a[32:39], v[48:63]// 00000000B92C: D3AE0030 1CC24168
	ds_read_b64_tr_b8 a[88:89], v5 offset:1024                 // 00000000B934: DBC40400 58000005
	ds_read_b64_tr_b8 a[90:91], v6 offset:1024                 // 00000000B93C: DBC40400 5A000006
	ds_read_b64_tr_b8 a[92:93], v5 offset:19456                // 00000000B944: DBC44C00 5C000005
	ds_read_b64_tr_b8 a[94:95], v6 offset:19456                // 00000000B94C: DBC44C00 5E000006
	v_mfma_f32_32x32x64_f8f6f4 v[48:63], a[112:119], a[40:47], v[48:63]// 00000000B954: D3AE0030 1CC25170
	ds_read_b64_tr_b8 a[96:97], v7 offset:1024                 // 00000000B95C: DBC40400 60000007
	ds_read_b64_tr_b8 a[98:99], v8 offset:1024                 // 00000000B964: DBC40400 62000008
	ds_read_b64_tr_b8 a[100:101], v7 offset:19456              // 00000000B96C: DBC44C00 64000007
	ds_read_b64_tr_b8 a[102:103], v8 offset:19456              // 00000000B974: DBC44C00 66000008
	v_mfma_f32_32x32x64_f8f6f4 v[48:63], a[120:127], a[48:55], v[48:63]// 00000000B97C: D3AE0030 1CC26178
	ds_read_b64_tr_b8 a[104:105], v5 offset:2048               // 00000000B984: DBC40800 68000005
	ds_read_b64_tr_b8 a[106:107], v6 offset:2048               // 00000000B98C: DBC40800 6A000006
	ds_read_b64_tr_b8 a[108:109], v5 offset:20480              // 00000000B994: DBC45000 6C000005
	ds_read_b64_tr_b8 a[110:111], v6 offset:20480              // 00000000B99C: DBC45000 6E000006
	v_mfma_f32_32x32x64_f8f6f4 v[48:63], a[128:135], a[56:63], v[48:63]// 00000000B9A4: D3AE0030 1CC27180
	ds_read_b64_tr_b8 a[112:113], v7 offset:2048               // 00000000B9AC: DBC40800 70000007
	ds_read_b64_tr_b8 a[114:115], v8 offset:2048               // 00000000B9B4: DBC40800 72000008
	ds_read_b64_tr_b8 a[116:117], v7 offset:20480              // 00000000B9BC: DBC45000 74000007
	ds_read_b64_tr_b8 a[118:119], v8 offset:20480              // 00000000B9C4: DBC45000 76000008
	v_mfma_f32_32x32x64_f8f6f4 v[48:63], a[136:143], a[64:71], v[48:63]// 00000000B9CC: D3AE0030 1CC28188
	ds_read_b64_tr_b8 a[120:121], v5 offset:3072               // 00000000B9D4: DBC40C00 78000005
	ds_read_b64_tr_b8 a[122:123], v6 offset:3072               // 00000000B9DC: DBC40C00 7A000006
	ds_read_b64_tr_b8 a[124:125], v5 offset:21504              // 00000000B9E4: DBC45400 7C000005
	ds_read_b64_tr_b8 a[126:127], v6 offset:21504              // 00000000B9EC: DBC45400 7E000006
	ds_read_b64_tr_b8 a[128:129], v7 offset:3072               // 00000000B9F4: DBC40C00 80000007
	ds_read_b64_tr_b8 a[130:131], v8 offset:3072               // 00000000B9FC: DBC40C00 82000008
	ds_read_b64_tr_b8 a[132:133], v7 offset:21504              // 00000000BA04: DBC45400 84000007
	ds_read_b64_tr_b8 a[134:135], v8 offset:21504              // 00000000BA0C: DBC45400 86000008
	s_nop 8                                                    // 00000000BA14: BF800008
	s_and_b32 s56, s48, 0xff                                   // 00000000BA18: 8638FF30 000000FF
	v_mov_b32_e32 v29, s56                                     // 00000000BA20: 7E3A0238
	v_lshrrev_b32_e32 v223, 5, v0                              // 00000000BA24: 21BE0085
	v_mul_i32_i24_e32 v223, 4, v223                            // 00000000BA28: 0DBFBE84
	v_add_u32_e32 v224, 1, v223                                // 00000000BA2C: 69C1BE81
	v_add_u32_e32 v225, 2, v223                                // 00000000BA30: 69C3BE82
	v_add_u32_e32 v226, 3, v223                                // 00000000BA34: 69C5BE83
	v_mov_b32_e32 v28, 0xff800000                              // 00000000BA38: 7E3802FF FF800000
	v_cmp_lt_u32_e64 s[36:37], v223, v29                       // 00000000BA40: D0C90024 00023BDF
	v_add_u32_e32 v223, 8, v223                                // 00000000BA48: 69BFBE88
	s_nop 0                                                    // 00000000BA4C: BF800000
	v_cndmask_b32_e64 v32, v28, v32, s[36:37]                  // 00000000BA50: D1000020 0092411C
	v_cmp_lt_u32_e64 s[36:37], v224, v29                       // 00000000BA58: D0C90024 00023BE0
	v_add_u32_e32 v224, 8, v224                                // 00000000BA60: 69C1C088
	s_nop 0                                                    // 00000000BA64: BF800000
	v_cndmask_b32_e64 v33, v28, v33, s[36:37]                  // 00000000BA68: D1000021 0092431C
	v_cmp_lt_u32_e64 s[36:37], v225, v29                       // 00000000BA70: D0C90024 00023BE1
	v_add_u32_e32 v225, 8, v225                                // 00000000BA78: 69C3C288
	s_nop 0                                                    // 00000000BA7C: BF800000
	v_cndmask_b32_e64 v34, v28, v34, s[36:37]                  // 00000000BA80: D1000022 0092451C
	v_cmp_lt_u32_e64 s[36:37], v226, v29                       // 00000000BA88: D0C90024 00023BE2
	v_add_u32_e32 v226, 8, v226                                // 00000000BA90: 69C5C488
	s_nop 0                                                    // 00000000BA94: BF800000
	v_cndmask_b32_e64 v35, v28, v35, s[36:37]                  // 00000000BA98: D1000023 0092471C
	v_cmp_lt_u32_e64 s[36:37], v223, v29                       // 00000000BAA0: D0C90024 00023BDF
	v_add_u32_e32 v223, 8, v223                                // 00000000BAA8: 69BFBE88
	s_nop 0                                                    // 00000000BAAC: BF800000
	v_cndmask_b32_e64 v36, v28, v36, s[36:37]                  // 00000000BAB0: D1000024 0092491C
	v_cmp_lt_u32_e64 s[36:37], v224, v29                       // 00000000BAB8: D0C90024 00023BE0
	v_add_u32_e32 v224, 8, v224                                // 00000000BAC0: 69C1C088
	s_nop 0                                                    // 00000000BAC4: BF800000
	v_cndmask_b32_e64 v37, v28, v37, s[36:37]                  // 00000000BAC8: D1000025 00924B1C
	v_cmp_lt_u32_e64 s[36:37], v225, v29                       // 00000000BAD0: D0C90024 00023BE1
	v_add_u32_e32 v225, 8, v225                                // 00000000BAD8: 69C3C288
	s_nop 0                                                    // 00000000BADC: BF800000
	v_cndmask_b32_e64 v38, v28, v38, s[36:37]                  // 00000000BAE0: D1000026 00924D1C
	v_cmp_lt_u32_e64 s[36:37], v226, v29                       // 00000000BAE8: D0C90024 00023BE2
	v_add_u32_e32 v226, 8, v226                                // 00000000BAF0: 69C5C488
	s_nop 0                                                    // 00000000BAF4: BF800000
	v_cndmask_b32_e64 v39, v28, v39, s[36:37]                  // 00000000BAF8: D1000027 00924F1C
	v_cmp_lt_u32_e64 s[36:37], v223, v29                       // 00000000BB00: D0C90024 00023BDF
	v_add_u32_e32 v223, 8, v223                                // 00000000BB08: 69BFBE88
	s_nop 0                                                    // 00000000BB0C: BF800000
	v_cndmask_b32_e64 v40, v28, v40, s[36:37]                  // 00000000BB10: D1000028 0092511C
	v_cmp_lt_u32_e64 s[36:37], v224, v29                       // 00000000BB18: D0C90024 00023BE0
	v_add_u32_e32 v224, 8, v224                                // 00000000BB20: 69C1C088
	s_nop 0                                                    // 00000000BB24: BF800000
	v_cndmask_b32_e64 v41, v28, v41, s[36:37]                  // 00000000BB28: D1000029 0092531C
	v_cmp_lt_u32_e64 s[36:37], v225, v29                       // 00000000BB30: D0C90024 00023BE1
	v_add_u32_e32 v225, 8, v225                                // 00000000BB38: 69C3C288
	s_nop 0                                                    // 00000000BB3C: BF800000
	v_cndmask_b32_e64 v42, v28, v42, s[36:37]                  // 00000000BB40: D100002A 0092551C
	v_cmp_lt_u32_e64 s[36:37], v226, v29                       // 00000000BB48: D0C90024 00023BE2
	v_add_u32_e32 v226, 8, v226                                // 00000000BB50: 69C5C488
	s_nop 0                                                    // 00000000BB54: BF800000
	v_cndmask_b32_e64 v43, v28, v43, s[36:37]                  // 00000000BB58: D100002B 0092571C
	v_cmp_lt_u32_e64 s[36:37], v223, v29                       // 00000000BB60: D0C90024 00023BDF
	v_add_u32_e32 v223, 8, v223                                // 00000000BB68: 69BFBE88
	s_nop 0                                                    // 00000000BB6C: BF800000
	v_cndmask_b32_e64 v44, v28, v44, s[36:37]                  // 00000000BB70: D100002C 0092591C
	v_cmp_lt_u32_e64 s[36:37], v224, v29                       // 00000000BB78: D0C90024 00023BE0
	v_add_u32_e32 v224, 8, v224                                // 00000000BB80: 69C1C088
	s_nop 0                                                    // 00000000BB84: BF800000
	v_cndmask_b32_e64 v45, v28, v45, s[36:37]                  // 00000000BB88: D100002D 00925B1C
	v_cmp_lt_u32_e64 s[36:37], v225, v29                       // 00000000BB90: D0C90024 00023BE1
	v_add_u32_e32 v225, 8, v225                                // 00000000BB98: 69C3C288
	s_nop 0                                                    // 00000000BB9C: BF800000
	v_cndmask_b32_e64 v46, v28, v46, s[36:37]                  // 00000000BBA0: D100002E 00925D1C
	v_cmp_lt_u32_e64 s[36:37], v226, v29                       // 00000000BBA8: D0C90024 00023BE2
	v_add_u32_e32 v226, 8, v226                                // 00000000BBB0: 69C5C488
	s_nop 0                                                    // 00000000BBB4: BF800000
	v_cndmask_b32_e64 v47, v28, v47, s[36:37]                  // 00000000BBB8: D100002F 00925F1C
	v_cmp_lt_u32_e64 s[36:37], v223, v29                       // 00000000BBC0: D0C90024 00023BDF
	v_add_u32_e32 v223, 8, v223                                // 00000000BBC8: 69BFBE88
	s_nop 0                                                    // 00000000BBCC: BF800000
	v_cndmask_b32_e64 v48, v28, v48, s[36:37]                  // 00000000BBD0: D1000030 0092611C
	v_cmp_lt_u32_e64 s[36:37], v224, v29                       // 00000000BBD8: D0C90024 00023BE0
	v_add_u32_e32 v224, 8, v224                                // 00000000BBE0: 69C1C088
	s_nop 0                                                    // 00000000BBE4: BF800000
	v_cndmask_b32_e64 v49, v28, v49, s[36:37]                  // 00000000BBE8: D1000031 0092631C
	v_cmp_lt_u32_e64 s[36:37], v225, v29                       // 00000000BBF0: D0C90024 00023BE1
	v_add_u32_e32 v225, 8, v225                                // 00000000BBF8: 69C3C288
	s_nop 0                                                    // 00000000BBFC: BF800000
	v_cndmask_b32_e64 v50, v28, v50, s[36:37]                  // 00000000BC00: D1000032 0092651C
	v_cmp_lt_u32_e64 s[36:37], v226, v29                       // 00000000BC08: D0C90024 00023BE2
	v_add_u32_e32 v226, 8, v226                                // 00000000BC10: 69C5C488
	s_nop 0                                                    // 00000000BC14: BF800000
	v_cndmask_b32_e64 v51, v28, v51, s[36:37]                  // 00000000BC18: D1000033 0092671C
	v_cmp_lt_u32_e64 s[36:37], v223, v29                       // 00000000BC20: D0C90024 00023BDF
	v_add_u32_e32 v223, 8, v223                                // 00000000BC28: 69BFBE88
	s_nop 0                                                    // 00000000BC2C: BF800000
	v_cndmask_b32_e64 v52, v28, v52, s[36:37]                  // 00000000BC30: D1000034 0092691C
	v_cmp_lt_u32_e64 s[36:37], v224, v29                       // 00000000BC38: D0C90024 00023BE0
	v_add_u32_e32 v224, 8, v224                                // 00000000BC40: 69C1C088
	s_nop 0                                                    // 00000000BC44: BF800000
	v_cndmask_b32_e64 v53, v28, v53, s[36:37]                  // 00000000BC48: D1000035 00926B1C
	v_cmp_lt_u32_e64 s[36:37], v225, v29                       // 00000000BC50: D0C90024 00023BE1
	v_add_u32_e32 v225, 8, v225                                // 00000000BC58: 69C3C288
	s_nop 0                                                    // 00000000BC5C: BF800000
	v_cndmask_b32_e64 v54, v28, v54, s[36:37]                  // 00000000BC60: D1000036 00926D1C
	v_cmp_lt_u32_e64 s[36:37], v226, v29                       // 00000000BC68: D0C90024 00023BE2
	v_add_u32_e32 v226, 8, v226                                // 00000000BC70: 69C5C488
	s_nop 0                                                    // 00000000BC74: BF800000
	v_cndmask_b32_e64 v55, v28, v55, s[36:37]                  // 00000000BC78: D1000037 00926F1C
	v_cmp_lt_u32_e64 s[36:37], v223, v29                       // 00000000BC80: D0C90024 00023BDF
	v_add_u32_e32 v223, 8, v223                                // 00000000BC88: 69BFBE88
	s_nop 0                                                    // 00000000BC8C: BF800000
	v_cndmask_b32_e64 v56, v28, v56, s[36:37]                  // 00000000BC90: D1000038 0092711C
	v_cmp_lt_u32_e64 s[36:37], v224, v29                       // 00000000BC98: D0C90024 00023BE0
	v_add_u32_e32 v224, 8, v224                                // 00000000BCA0: 69C1C088
	s_nop 0                                                    // 00000000BCA4: BF800000
	v_cndmask_b32_e64 v57, v28, v57, s[36:37]                  // 00000000BCA8: D1000039 0092731C
	v_cmp_lt_u32_e64 s[36:37], v225, v29                       // 00000000BCB0: D0C90024 00023BE1
	v_add_u32_e32 v225, 8, v225                                // 00000000BCB8: 69C3C288
	s_nop 0                                                    // 00000000BCBC: BF800000
	v_cndmask_b32_e64 v58, v28, v58, s[36:37]                  // 00000000BCC0: D100003A 0092751C
	v_cmp_lt_u32_e64 s[36:37], v226, v29                       // 00000000BCC8: D0C90024 00023BE2
	v_add_u32_e32 v226, 8, v226                                // 00000000BCD0: 69C5C488
	s_nop 0                                                    // 00000000BCD4: BF800000
	v_cndmask_b32_e64 v59, v28, v59, s[36:37]                  // 00000000BCD8: D100003B 0092771C
	v_cmp_lt_u32_e64 s[36:37], v223, v29                       // 00000000BCE0: D0C90024 00023BDF
	v_add_u32_e32 v223, 8, v223                                // 00000000BCE8: 69BFBE88
	s_nop 0                                                    // 00000000BCEC: BF800000
	v_cndmask_b32_e64 v60, v28, v60, s[36:37]                  // 00000000BCF0: D100003C 0092791C
	v_cmp_lt_u32_e64 s[36:37], v224, v29                       // 00000000BCF8: D0C90024 00023BE0
	v_add_u32_e32 v224, 8, v224                                // 00000000BD00: 69C1C088
	s_nop 0                                                    // 00000000BD04: BF800000
	v_cndmask_b32_e64 v61, v28, v61, s[36:37]                  // 00000000BD08: D100003D 00927B1C
	v_cmp_lt_u32_e64 s[36:37], v225, v29                       // 00000000BD10: D0C90024 00023BE1
	v_add_u32_e32 v225, 8, v225                                // 00000000BD18: 69C3C288
	s_nop 0                                                    // 00000000BD1C: BF800000
	v_cndmask_b32_e64 v62, v28, v62, s[36:37]                  // 00000000BD20: D100003E 00927D1C
	v_cmp_lt_u32_e64 s[36:37], v226, v29                       // 00000000BD28: D0C90024 00023BE2
	v_add_u32_e32 v226, 8, v226                                // 00000000BD30: 69C5C488
	s_nop 0                                                    // 00000000BD34: BF800000
	v_cndmask_b32_e64 v63, v28, v63, s[36:37]                  // 00000000BD38: D100003F 00927F1C
	s_cmp_le_i32 s83, s82                                      // 00000000BD40: BF055253
	s_cbranch_scc1 label_9D98                                  // 00000000BD44: BF8500D4
	v_mov_b32_e32 v28, s82                                     // 00000000BD48: 7E380252
	s_cmp_eq_i32 s81, 1                                        // 00000000BD4C: BF008151
	s_cbranch_scc1 label_9A74                                  // 00000000BD50: BF850008
	s_cmp_eq_i32 s81, 2                                        // 00000000BD54: BF008251
	s_cbranch_scc1 label_9A68                                  // 00000000BD58: BF850003
	v_add_i32 v28, s7, v28                                     // 00000000BD5C: D29C001C 00023807
	s_branch label_9A74                                        // 00000000BD64: BF820003

000000000000bd68 <label_9A68>:
	s_lshr_b32 s56, s7, 1                                      // 00000000BD68: 8F388107
	v_add_u32_e32 v28, s56, v28                                // 00000000BD6C: 68383838
	s_branch label_9A74                                        // 00000000BD70: BF820000

000000000000bd74 <label_9A74>:
	s_sub_u32 s56, s83, 63                                     // 00000000BD74: 80B8BF53
	v_lshrrev_b32_e32 v223, 5, v0                              // 00000000BD78: 21BE0085
	v_mul_i32_i24_e32 v223, 4, v223                            // 00000000BD7C: 0DBFBE84
	v_add_u32_e32 v223, s56, v223                              // 00000000BD80: 69BFBE38
	v_add_u32_e32 v224, 1, v223                                // 00000000BD84: 69C1BE81
	v_add_u32_e32 v225, 2, v223                                // 00000000BD88: 69C3BE82
	v_add_u32_e32 v226, 3, v223                                // 00000000BD8C: 69C5BE83
	v_mov_b32_e32 v31, 0xff800000                              // 00000000BD90: 7E3E02FF FF800000
	v_cmp_le_i32_e64 s[36:37], v223, v28                       // 00000000BD98: D0C30024 000239DF
	s_nop 0                                                    // 00000000BDA0: BF800000
	v_cndmask_b32_e64 v32, v31, v32, s[36:37]                  // 00000000BDA4: D1000020 0092411F
	v_add_u32_e32 v223, 8, v223                                // 00000000BDAC: 69BFBE88
	v_cmp_le_i32_e64 s[36:37], v224, v28                       // 00000000BDB0: D0C30024 000239E0
	s_nop 0                                                    // 00000000BDB8: BF800000
	v_cndmask_b32_e64 v33, v31, v33, s[36:37]                  // 00000000BDBC: D1000021 0092431F
	v_add_u32_e32 v224, 8, v224                                // 00000000BDC4: 69C1C088
	v_cmp_le_i32_e64 s[36:37], v225, v28                       // 00000000BDC8: D0C30024 000239E1
	s_nop 0                                                    // 00000000BDD0: BF800000
	v_cndmask_b32_e64 v34, v31, v34, s[36:37]                  // 00000000BDD4: D1000022 0092451F
	v_add_u32_e32 v225, 8, v225                                // 00000000BDDC: 69C3C288
	v_cmp_le_i32_e64 s[36:37], v226, v28                       // 00000000BDE0: D0C30024 000239E2
	s_nop 0                                                    // 00000000BDE8: BF800000
	v_cndmask_b32_e64 v35, v31, v35, s[36:37]                  // 00000000BDEC: D1000023 0092471F
	v_add_u32_e32 v226, 8, v226                                // 00000000BDF4: 69C5C488
	v_cmp_le_i32_e64 s[36:37], v223, v28                       // 00000000BDF8: D0C30024 000239DF
	s_nop 0                                                    // 00000000BE00: BF800000
	v_cndmask_b32_e64 v36, v31, v36, s[36:37]                  // 00000000BE04: D1000024 0092491F
	v_add_u32_e32 v223, 8, v223                                // 00000000BE0C: 69BFBE88
	v_cmp_le_i32_e64 s[36:37], v224, v28                       // 00000000BE10: D0C30024 000239E0
	s_nop 0                                                    // 00000000BE18: BF800000
	v_cndmask_b32_e64 v37, v31, v37, s[36:37]                  // 00000000BE1C: D1000025 00924B1F
	v_add_u32_e32 v224, 8, v224                                // 00000000BE24: 69C1C088
	v_cmp_le_i32_e64 s[36:37], v225, v28                       // 00000000BE28: D0C30024 000239E1
	s_nop 0                                                    // 00000000BE30: BF800000
	v_cndmask_b32_e64 v38, v31, v38, s[36:37]                  // 00000000BE34: D1000026 00924D1F
	v_add_u32_e32 v225, 8, v225                                // 00000000BE3C: 69C3C288
	v_cmp_le_i32_e64 s[36:37], v226, v28                       // 00000000BE40: D0C30024 000239E2
	s_nop 0                                                    // 00000000BE48: BF800000
	v_cndmask_b32_e64 v39, v31, v39, s[36:37]                  // 00000000BE4C: D1000027 00924F1F
	v_add_u32_e32 v226, 8, v226                                // 00000000BE54: 69C5C488
	v_cmp_le_i32_e64 s[36:37], v223, v28                       // 00000000BE58: D0C30024 000239DF
	s_nop 0                                                    // 00000000BE60: BF800000
	v_cndmask_b32_e64 v40, v31, v40, s[36:37]                  // 00000000BE64: D1000028 0092511F
	v_add_u32_e32 v223, 8, v223                                // 00000000BE6C: 69BFBE88
	v_cmp_le_i32_e64 s[36:37], v224, v28                       // 00000000BE70: D0C30024 000239E0
	s_nop 0                                                    // 00000000BE78: BF800000
	v_cndmask_b32_e64 v41, v31, v41, s[36:37]                  // 00000000BE7C: D1000029 0092531F
	v_add_u32_e32 v224, 8, v224                                // 00000000BE84: 69C1C088
	v_cmp_le_i32_e64 s[36:37], v225, v28                       // 00000000BE88: D0C30024 000239E1
	s_nop 0                                                    // 00000000BE90: BF800000
	v_cndmask_b32_e64 v42, v31, v42, s[36:37]                  // 00000000BE94: D100002A 0092551F
	v_add_u32_e32 v225, 8, v225                                // 00000000BE9C: 69C3C288
	v_cmp_le_i32_e64 s[36:37], v226, v28                       // 00000000BEA0: D0C30024 000239E2
	s_nop 0                                                    // 00000000BEA8: BF800000
	v_cndmask_b32_e64 v43, v31, v43, s[36:37]                  // 00000000BEAC: D100002B 0092571F
	v_add_u32_e32 v226, 8, v226                                // 00000000BEB4: 69C5C488
	v_cmp_le_i32_e64 s[36:37], v223, v28                       // 00000000BEB8: D0C30024 000239DF
	s_nop 0                                                    // 00000000BEC0: BF800000
	v_cndmask_b32_e64 v44, v31, v44, s[36:37]                  // 00000000BEC4: D100002C 0092591F
	v_add_u32_e32 v223, 8, v223                                // 00000000BECC: 69BFBE88
	v_cmp_le_i32_e64 s[36:37], v224, v28                       // 00000000BED0: D0C30024 000239E0
	s_nop 0                                                    // 00000000BED8: BF800000
	v_cndmask_b32_e64 v45, v31, v45, s[36:37]                  // 00000000BEDC: D100002D 00925B1F
	v_add_u32_e32 v224, 8, v224                                // 00000000BEE4: 69C1C088
	v_cmp_le_i32_e64 s[36:37], v225, v28                       // 00000000BEE8: D0C30024 000239E1
	s_nop 0                                                    // 00000000BEF0: BF800000
	v_cndmask_b32_e64 v46, v31, v46, s[36:37]                  // 00000000BEF4: D100002E 00925D1F
	v_add_u32_e32 v225, 8, v225                                // 00000000BEFC: 69C3C288
	v_cmp_le_i32_e64 s[36:37], v226, v28                       // 00000000BF00: D0C30024 000239E2
	s_nop 0                                                    // 00000000BF08: BF800000
	v_cndmask_b32_e64 v47, v31, v47, s[36:37]                  // 00000000BF0C: D100002F 00925F1F
	v_add_u32_e32 v226, 8, v226                                // 00000000BF14: 69C5C488
	v_cmp_le_i32_e64 s[36:37], v223, v28                       // 00000000BF18: D0C30024 000239DF
	s_nop 0                                                    // 00000000BF20: BF800000
	v_cndmask_b32_e64 v48, v31, v48, s[36:37]                  // 00000000BF24: D1000030 0092611F
	v_add_u32_e32 v223, 8, v223                                // 00000000BF2C: 69BFBE88
	v_cmp_le_i32_e64 s[36:37], v224, v28                       // 00000000BF30: D0C30024 000239E0
	s_nop 0                                                    // 00000000BF38: BF800000
	v_cndmask_b32_e64 v49, v31, v49, s[36:37]                  // 00000000BF3C: D1000031 0092631F
	v_add_u32_e32 v224, 8, v224                                // 00000000BF44: 69C1C088
	v_cmp_le_i32_e64 s[36:37], v225, v28                       // 00000000BF48: D0C30024 000239E1
	s_nop 0                                                    // 00000000BF50: BF800000
	v_cndmask_b32_e64 v50, v31, v50, s[36:37]                  // 00000000BF54: D1000032 0092651F
	v_add_u32_e32 v225, 8, v225                                // 00000000BF5C: 69C3C288
	v_cmp_le_i32_e64 s[36:37], v226, v28                       // 00000000BF60: D0C30024 000239E2
	s_nop 0                                                    // 00000000BF68: BF800000
	v_cndmask_b32_e64 v51, v31, v51, s[36:37]                  // 00000000BF6C: D1000033 0092671F
	v_add_u32_e32 v226, 8, v226                                // 00000000BF74: 69C5C488
	v_cmp_le_i32_e64 s[36:37], v223, v28                       // 00000000BF78: D0C30024 000239DF
	s_nop 0                                                    // 00000000BF80: BF800000
	v_cndmask_b32_e64 v52, v31, v52, s[36:37]                  // 00000000BF84: D1000034 0092691F
	v_add_u32_e32 v223, 8, v223                                // 00000000BF8C: 69BFBE88
	v_cmp_le_i32_e64 s[36:37], v224, v28                       // 00000000BF90: D0C30024 000239E0
	s_nop 0                                                    // 00000000BF98: BF800000
	v_cndmask_b32_e64 v53, v31, v53, s[36:37]                  // 00000000BF9C: D1000035 00926B1F
	v_add_u32_e32 v224, 8, v224                                // 00000000BFA4: 69C1C088
	v_cmp_le_i32_e64 s[36:37], v225, v28                       // 00000000BFA8: D0C30024 000239E1
	s_nop 0                                                    // 00000000BFB0: BF800000
	v_cndmask_b32_e64 v54, v31, v54, s[36:37]                  // 00000000BFB4: D1000036 00926D1F
	v_add_u32_e32 v225, 8, v225                                // 00000000BFBC: 69C3C288
	v_cmp_le_i32_e64 s[36:37], v226, v28                       // 00000000BFC0: D0C30024 000239E2
	s_nop 0                                                    // 00000000BFC8: BF800000
	v_cndmask_b32_e64 v55, v31, v55, s[36:37]                  // 00000000BFCC: D1000037 00926F1F
	v_add_u32_e32 v226, 8, v226                                // 00000000BFD4: 69C5C488
	v_cmp_le_i32_e64 s[36:37], v223, v28                       // 00000000BFD8: D0C30024 000239DF
	s_nop 0                                                    // 00000000BFE0: BF800000
	v_cndmask_b32_e64 v56, v31, v56, s[36:37]                  // 00000000BFE4: D1000038 0092711F
	v_add_u32_e32 v223, 8, v223                                // 00000000BFEC: 69BFBE88
	v_cmp_le_i32_e64 s[36:37], v224, v28                       // 00000000BFF0: D0C30024 000239E0
	s_nop 0                                                    // 00000000BFF8: BF800000
	v_cndmask_b32_e64 v57, v31, v57, s[36:37]                  // 00000000BFFC: D1000039 0092731F
	v_add_u32_e32 v224, 8, v224                                // 00000000C004: 69C1C088
	v_cmp_le_i32_e64 s[36:37], v225, v28                       // 00000000C008: D0C30024 000239E1
	s_nop 0                                                    // 00000000C010: BF800000
	v_cndmask_b32_e64 v58, v31, v58, s[36:37]                  // 00000000C014: D100003A 0092751F
	v_add_u32_e32 v225, 8, v225                                // 00000000C01C: 69C3C288
	v_cmp_le_i32_e64 s[36:37], v226, v28                       // 00000000C020: D0C30024 000239E2
	s_nop 0                                                    // 00000000C028: BF800000
	v_cndmask_b32_e64 v59, v31, v59, s[36:37]                  // 00000000C02C: D100003B 0092771F
	v_add_u32_e32 v226, 8, v226                                // 00000000C034: 69C5C488
	v_cmp_le_i32_e64 s[36:37], v223, v28                       // 00000000C038: D0C30024 000239DF
	s_nop 0                                                    // 00000000C040: BF800000
	v_cndmask_b32_e64 v60, v31, v60, s[36:37]                  // 00000000C044: D100003C 0092791F
	v_add_u32_e32 v223, 8, v223                                // 00000000C04C: 69BFBE88
	v_cmp_le_i32_e64 s[36:37], v224, v28                       // 00000000C050: D0C30024 000239E0
	s_nop 0                                                    // 00000000C058: BF800000
	v_cndmask_b32_e64 v61, v31, v61, s[36:37]                  // 00000000C05C: D100003D 00927B1F
	v_add_u32_e32 v224, 8, v224                                // 00000000C064: 69C1C088
	v_cmp_le_i32_e64 s[36:37], v225, v28                       // 00000000C068: D0C30024 000239E1
	s_nop 0                                                    // 00000000C070: BF800000
	v_cndmask_b32_e64 v62, v31, v62, s[36:37]                  // 00000000C074: D100003E 00927D1F
	v_add_u32_e32 v225, 8, v225                                // 00000000C07C: 69C3C288
	v_cmp_le_i32_e64 s[36:37], v226, v28                       // 00000000C080: D0C30024 000239E2
	s_nop 0                                                    // 00000000C088: BF800000
	v_cndmask_b32_e64 v63, v31, v63, s[36:37]                  // 00000000C08C: D100003F 00927F1F
	v_add_u32_e32 v226, 8, v226                                // 00000000C094: 69C5C488

000000000000c098 <label_9D98>:
	s_add_u32 s83, s84, s83                                    // 00000000C098: 80535354
	s_nop 2                                                    // 00000000C09C: BF800002
	v_mov_b32_e32 v29, v32                                     // 00000000C0A0: 7E3A0320
	v_max3_f32 v29, v32, v33, v29                              // 00000000C0A4: D1D3001D 04764320
	v_max3_f32 v29, v34, v35, v29                              // 00000000C0AC: D1D3001D 04764722
	v_max3_f32 v29, v36, v37, v29                              // 00000000C0B4: D1D3001D 04764B24
	v_max3_f32 v29, v38, v39, v29                              // 00000000C0BC: D1D3001D 04764F26
	v_max3_f32 v29, v40, v41, v29                              // 00000000C0C4: D1D3001D 04765328
	v_max3_f32 v29, v42, v43, v29                              // 00000000C0CC: D1D3001D 0476572A
	v_max3_f32 v29, v44, v45, v29                              // 00000000C0D4: D1D3001D 04765B2C
	v_max3_f32 v29, v46, v47, v29                              // 00000000C0DC: D1D3001D 04765F2E
	v_max3_f32 v29, v48, v49, v29                              // 00000000C0E4: D1D3001D 04766330
	v_max3_f32 v29, v50, v51, v29                              // 00000000C0EC: D1D3001D 04766732
	v_max3_f32 v29, v52, v53, v29                              // 00000000C0F4: D1D3001D 04766B34
	v_max3_f32 v29, v54, v55, v29                              // 00000000C0FC: D1D3001D 04766F36
	v_max3_f32 v29, v56, v57, v29                              // 00000000C104: D1D3001D 04767338
	v_max3_f32 v29, v58, v59, v29                              // 00000000C10C: D1D3001D 0476773A
	v_max3_f32 v29, v60, v61, v29                              // 00000000C114: D1D3001D 04767B3C
	v_max3_f32 v29, v62, v63, v29                              // 00000000C11C: D1D3001D 04767F3E
	v_mov_b32_e32 v28, v29                                     // 00000000C124: 7E38031D
	v_mov_b32_e32 v29, v29                                     // 00000000C128: 7E3A031D
	s_nop 1                                                    // 00000000C12C: BF800001
	v_permlane32_swap_b32_e32 v28, v29                         // 00000000C130: 7E38B51D
	v_max3_f32 v29, v28, v29, v29                              // 00000000C134: D1D3001D 04763B1C
	v_mov_b32_e32 v28, 0xff800000                              // 00000000C13C: 7E3802FF FF800000
	v_cmp_eq_u32_e64 s[36:37], v28, v2                         // 00000000C144: D0CA0024 0002051C
	v_max_f32_e32 v29, v29, v2                                 // 00000000C14C: 163A051D
	v_sub_f32_e32 v17, v2, v29                                 // 00000000C150: 04223B02
	v_cndmask_b32_e64 v17, v17, 0, s[36:37]                    // 00000000C154: D1000011 00910111
	v_mov_b32_e32 v2, v29                                      // 00000000C15C: 7E04031D
	v_mul_f32_e32 v29, s5, v29                                 // 00000000C160: 0A3A3A05
	v_mul_f32_e32 v17, s5, v17                                 // 00000000C164: 0A222205
	v_exp_f32_e32 v17, v17                                     // 00000000C168: 7E224111
	v_fma_f32 v32, v32, s5, -v29                               // 00000000C16C: D1CB0020 84740B20
	v_fma_f32 v33, v33, s5, -v29                               // 00000000C174: D1CB0021 84740B21
	v_fma_f32 v34, v34, s5, -v29                               // 00000000C17C: D1CB0022 84740B22
	v_fma_f32 v35, v35, s5, -v29                               // 00000000C184: D1CB0023 84740B23
	v_fma_f32 v36, v36, s5, -v29                               // 00000000C18C: D1CB0024 84740B24
	v_fma_f32 v37, v37, s5, -v29                               // 00000000C194: D1CB0025 84740B25
	v_fma_f32 v38, v38, s5, -v29                               // 00000000C19C: D1CB0026 84740B26
	v_fma_f32 v39, v39, s5, -v29                               // 00000000C1A4: D1CB0027 84740B27
	v_fma_f32 v40, v40, s5, -v29                               // 00000000C1AC: D1CB0028 84740B28
	v_fma_f32 v41, v41, s5, -v29                               // 00000000C1B4: D1CB0029 84740B29
	v_fma_f32 v42, v42, s5, -v29                               // 00000000C1BC: D1CB002A 84740B2A
	v_fma_f32 v43, v43, s5, -v29                               // 00000000C1C4: D1CB002B 84740B2B
	v_fma_f32 v44, v44, s5, -v29                               // 00000000C1CC: D1CB002C 84740B2C
	v_fma_f32 v45, v45, s5, -v29                               // 00000000C1D4: D1CB002D 84740B2D
	v_fma_f32 v46, v46, s5, -v29                               // 00000000C1DC: D1CB002E 84740B2E
	v_fma_f32 v47, v47, s5, -v29                               // 00000000C1E4: D1CB002F 84740B2F
	v_fma_f32 v48, v48, s5, -v29                               // 00000000C1EC: D1CB0030 84740B30
	v_fma_f32 v49, v49, s5, -v29                               // 00000000C1F4: D1CB0031 84740B31
	v_fma_f32 v50, v50, s5, -v29                               // 00000000C1FC: D1CB0032 84740B32
	v_fma_f32 v51, v51, s5, -v29                               // 00000000C204: D1CB0033 84740B33
	v_fma_f32 v52, v52, s5, -v29                               // 00000000C20C: D1CB0034 84740B34
	v_fma_f32 v53, v53, s5, -v29                               // 00000000C214: D1CB0035 84740B35
	v_fma_f32 v54, v54, s5, -v29                               // 00000000C21C: D1CB0036 84740B36
	v_fma_f32 v55, v55, s5, -v29                               // 00000000C224: D1CB0037 84740B37
	v_fma_f32 v56, v56, s5, -v29                               // 00000000C22C: D1CB0038 84740B38
	v_fma_f32 v57, v57, s5, -v29                               // 00000000C234: D1CB0039 84740B39
	v_fma_f32 v58, v58, s5, -v29                               // 00000000C23C: D1CB003A 84740B3A
	v_fma_f32 v59, v59, s5, -v29                               // 00000000C244: D1CB003B 84740B3B
	v_fma_f32 v60, v60, s5, -v29                               // 00000000C24C: D1CB003C 84740B3C
	v_fma_f32 v61, v61, s5, -v29                               // 00000000C254: D1CB003D 84740B3D
	v_fma_f32 v62, v62, s5, -v29                               // 00000000C25C: D1CB003E 84740B3E
	v_fma_f32 v63, v63, s5, -v29                               // 00000000C264: D1CB003F 84740B3F
	v_exp_f32_e32 v32, v32                                     // 00000000C26C: 7E404120
	v_exp_f32_e32 v33, v33                                     // 00000000C270: 7E424121
	v_exp_f32_e32 v34, v34                                     // 00000000C274: 7E444122
	v_exp_f32_e32 v35, v35                                     // 00000000C278: 7E464123
	v_exp_f32_e32 v36, v36                                     // 00000000C27C: 7E484124
	v_exp_f32_e32 v37, v37                                     // 00000000C280: 7E4A4125
	v_exp_f32_e32 v38, v38                                     // 00000000C284: 7E4C4126
	v_exp_f32_e32 v39, v39                                     // 00000000C288: 7E4E4127
	v_exp_f32_e32 v40, v40                                     // 00000000C28C: 7E504128
	v_exp_f32_e32 v41, v41                                     // 00000000C290: 7E524129
	v_exp_f32_e32 v42, v42                                     // 00000000C294: 7E54412A
	v_exp_f32_e32 v43, v43                                     // 00000000C298: 7E56412B
	v_exp_f32_e32 v44, v44                                     // 00000000C29C: 7E58412C
	v_exp_f32_e32 v45, v45                                     // 00000000C2A0: 7E5A412D
	v_exp_f32_e32 v46, v46                                     // 00000000C2A4: 7E5C412E
	v_exp_f32_e32 v47, v47                                     // 00000000C2A8: 7E5E412F
	v_exp_f32_e32 v48, v48                                     // 00000000C2AC: 7E604130
	v_exp_f32_e32 v49, v49                                     // 00000000C2B0: 7E624131
	v_exp_f32_e32 v50, v50                                     // 00000000C2B4: 7E644132
	v_exp_f32_e32 v51, v51                                     // 00000000C2B8: 7E664133
	v_exp_f32_e32 v52, v52                                     // 00000000C2BC: 7E684134
	v_exp_f32_e32 v53, v53                                     // 00000000C2C0: 7E6A4135
	v_exp_f32_e32 v54, v54                                     // 00000000C2C4: 7E6C4136
	v_exp_f32_e32 v55, v55                                     // 00000000C2C8: 7E6E4137
	v_exp_f32_e32 v56, v56                                     // 00000000C2CC: 7E704138
	v_exp_f32_e32 v57, v57                                     // 00000000C2D0: 7E724139
	v_exp_f32_e32 v58, v58                                     // 00000000C2D4: 7E74413A
	v_exp_f32_e32 v59, v59                                     // 00000000C2D8: 7E76413B
	v_exp_f32_e32 v60, v60                                     // 00000000C2DC: 7E78413C
	v_exp_f32_e32 v61, v61                                     // 00000000C2E0: 7E7A413D
	v_exp_f32_e32 v62, v62                                     // 00000000C2E4: 7E7C413E
	v_exp_f32_e32 v63, v63                                     // 00000000C2E8: 7E7E413F
	v_mul_f32_e32 v4, v17, v4                                  // 00000000C2EC: 0A080911
	v_mov_b32_e32 v28, v32                                     // 00000000C2F0: 7E380320
	v_add_f32_e32 v28, v33, v28                                // 00000000C2F4: 02383921
	v_add_f32_e32 v28, v34, v28                                // 00000000C2F8: 02383922
	v_add_f32_e32 v28, v35, v28                                // 00000000C2FC: 02383923
	v_add_f32_e32 v28, v36, v28                                // 00000000C300: 02383924
	v_add_f32_e32 v28, v37, v28                                // 00000000C304: 02383925
	v_add_f32_e32 v28, v38, v28                                // 00000000C308: 02383926
	v_add_f32_e32 v28, v39, v28                                // 00000000C30C: 02383927
	v_add_f32_e32 v28, v40, v28                                // 00000000C310: 02383928
	v_add_f32_e32 v28, v41, v28                                // 00000000C314: 02383929
	v_add_f32_e32 v28, v42, v28                                // 00000000C318: 0238392A
	v_add_f32_e32 v28, v43, v28                                // 00000000C31C: 0238392B
	v_add_f32_e32 v28, v44, v28                                // 00000000C320: 0238392C
	v_add_f32_e32 v28, v45, v28                                // 00000000C324: 0238392D
	v_add_f32_e32 v28, v46, v28                                // 00000000C328: 0238392E
	v_add_f32_e32 v28, v47, v28                                // 00000000C32C: 0238392F
	v_add_f32_e32 v28, v48, v28                                // 00000000C330: 02383930
	v_add_f32_e32 v28, v49, v28                                // 00000000C334: 02383931
	v_add_f32_e32 v28, v50, v28                                // 00000000C338: 02383932
	v_add_f32_e32 v28, v51, v28                                // 00000000C33C: 02383933
	v_add_f32_e32 v28, v52, v28                                // 00000000C340: 02383934
	v_add_f32_e32 v28, v53, v28                                // 00000000C344: 02383935
	v_add_f32_e32 v28, v54, v28                                // 00000000C348: 02383936
	v_add_f32_e32 v28, v55, v28                                // 00000000C34C: 02383937
	v_add_f32_e32 v28, v56, v28                                // 00000000C350: 02383938
	v_add_f32_e32 v28, v57, v28                                // 00000000C354: 02383939
	v_add_f32_e32 v28, v58, v28                                // 00000000C358: 0238393A
	v_add_f32_e32 v28, v59, v28                                // 00000000C35C: 0238393B
	v_add_f32_e32 v28, v60, v28                                // 00000000C360: 0238393C
	v_add_f32_e32 v28, v61, v28                                // 00000000C364: 0238393D
	v_add_f32_e32 v28, v62, v28                                // 00000000C368: 0238393E
	v_add_f32_e32 v28, v63, v28                                // 00000000C36C: 0238393F
	v_add_f32_e32 v4, v28, v4                                  // 00000000C370: 0208091C
	v_cvt_pk_fp8_f32 v32, v32, v33                             // 00000000C374: D2A20020 00024320
	v_cvt_pk_fp8_f32 v32, v34, v35 op_sel:[0,0,1]              // 00000000C37C: D2A24020 00024722
	v_cvt_pk_fp8_f32 v33, v36, v37                             // 00000000C384: D2A20021 00024B24
	v_cvt_pk_fp8_f32 v33, v38, v39 op_sel:[0,0,1]              // 00000000C38C: D2A24021 00024F26
	v_cvt_pk_fp8_f32 v34, v40, v41                             // 00000000C394: D2A20022 00025328
	v_cvt_pk_fp8_f32 v34, v42, v43 op_sel:[0,0,1]              // 00000000C39C: D2A24022 0002572A
	v_cvt_pk_fp8_f32 v35, v44, v45                             // 00000000C3A4: D2A20023 00025B2C
	v_cvt_pk_fp8_f32 v35, v46, v47 op_sel:[0,0,1]              // 00000000C3AC: D2A24023 00025F2E
	v_cvt_pk_fp8_f32 v36, v48, v49                             // 00000000C3B4: D2A20024 00026330
	v_cvt_pk_fp8_f32 v36, v50, v51 op_sel:[0,0,1]              // 00000000C3BC: D2A24024 00026732
	v_cvt_pk_fp8_f32 v37, v52, v53                             // 00000000C3C4: D2A20025 00026B34
	v_cvt_pk_fp8_f32 v37, v54, v55 op_sel:[0,0,1]              // 00000000C3CC: D2A24025 00026F36
	v_cvt_pk_fp8_f32 v38, v56, v57                             // 00000000C3D4: D2A20026 00027338
	v_cvt_pk_fp8_f32 v38, v58, v59 op_sel:[0,0,1]              // 00000000C3DC: D2A24026 0002773A
	v_cvt_pk_fp8_f32 v39, v60, v61                             // 00000000C3E4: D2A20027 00027B3C
	v_cvt_pk_fp8_f32 v39, v62, v63 op_sel:[0,0,1]              // 00000000C3EC: D2A24027 00027F3E
	v_permlane32_swap_b32_e32 v32, v34                         // 00000000C3F4: 7E40B522
	v_permlane32_swap_b32_e32 v33, v35                         // 00000000C3F8: 7E42B523
	v_swap_b32 v33, v34                                        // 00000000C3FC: 7E42A322
	v_permlane32_swap_b32_e32 v36, v38                         // 00000000C400: 7E48B526
	v_permlane32_swap_b32_e32 v37, v39                         // 00000000C404: 7E4AB527
	v_swap_b32 v37, v38                                        // 00000000C408: 7E4AA326
	v_mov_b32_e32 v28, v17                                     // 00000000C40C: 7E380311
	v_mul_f32_e32 v64, v28, v64                                // 00000000C410: 0A80811C
	v_mul_f32_e32 v65, v28, v65                                // 00000000C414: 0A82831C
	v_mul_f32_e32 v66, v28, v66                                // 00000000C418: 0A84851C
	v_mul_f32_e32 v67, v28, v67                                // 00000000C41C: 0A86871C
	v_mul_f32_e32 v68, v28, v68                                // 00000000C420: 0A88891C
	v_mul_f32_e32 v69, v28, v69                                // 00000000C424: 0A8A8B1C
	v_mul_f32_e32 v70, v28, v70                                // 00000000C428: 0A8C8D1C
	v_mul_f32_e32 v71, v28, v71                                // 00000000C42C: 0A8E8F1C
	v_mul_f32_e32 v72, v28, v72                                // 00000000C430: 0A90911C
	v_mul_f32_e32 v73, v28, v73                                // 00000000C434: 0A92931C
	v_mul_f32_e32 v74, v28, v74                                // 00000000C438: 0A94951C
	v_mul_f32_e32 v75, v28, v75                                // 00000000C43C: 0A96971C
	v_mul_f32_e32 v76, v28, v76                                // 00000000C440: 0A98991C
	v_mul_f32_e32 v77, v28, v77                                // 00000000C444: 0A9A9B1C
	v_mul_f32_e32 v78, v28, v78                                // 00000000C448: 0A9C9D1C
	v_mul_f32_e32 v79, v28, v79                                // 00000000C44C: 0A9E9F1C
	v_mul_f32_e32 v80, v28, v80                                // 00000000C450: 0AA0A11C
	v_mul_f32_e32 v81, v28, v81                                // 00000000C454: 0AA2A31C
	v_mul_f32_e32 v82, v28, v82                                // 00000000C458: 0AA4A51C
	v_mul_f32_e32 v83, v28, v83                                // 00000000C45C: 0AA6A71C
	v_mul_f32_e32 v84, v28, v84                                // 00000000C460: 0AA8A91C
	v_mul_f32_e32 v85, v28, v85                                // 00000000C464: 0AAAAB1C
	v_mul_f32_e32 v86, v28, v86                                // 00000000C468: 0AACAD1C
	v_mul_f32_e32 v87, v28, v87                                // 00000000C46C: 0AAEAF1C
	v_mul_f32_e32 v88, v28, v88                                // 00000000C470: 0AB0B11C
	v_mul_f32_e32 v89, v28, v89                                // 00000000C474: 0AB2B31C
	v_mul_f32_e32 v90, v28, v90                                // 00000000C478: 0AB4B51C
	v_mul_f32_e32 v91, v28, v91                                // 00000000C47C: 0AB6B71C
	v_mul_f32_e32 v92, v28, v92                                // 00000000C480: 0AB8B91C
	v_mul_f32_e32 v93, v28, v93                                // 00000000C484: 0ABABB1C
	v_mul_f32_e32 v94, v28, v94                                // 00000000C488: 0ABCBD1C
	v_mul_f32_e32 v95, v28, v95                                // 00000000C48C: 0ABEBF1C
	v_mul_f32_e32 v96, v28, v96                                // 00000000C490: 0AC0C11C
	v_mul_f32_e32 v97, v28, v97                                // 00000000C494: 0AC2C31C
	v_mul_f32_e32 v98, v28, v98                                // 00000000C498: 0AC4C51C
	v_mul_f32_e32 v99, v28, v99                                // 00000000C49C: 0AC6C71C
	v_mul_f32_e32 v100, v28, v100                              // 00000000C4A0: 0AC8C91C
	v_mul_f32_e32 v101, v28, v101                              // 00000000C4A4: 0ACACB1C
	v_mul_f32_e32 v102, v28, v102                              // 00000000C4A8: 0ACCCD1C
	v_mul_f32_e32 v103, v28, v103                              // 00000000C4AC: 0ACECF1C
	v_mul_f32_e32 v104, v28, v104                              // 00000000C4B0: 0AD0D11C
	v_mul_f32_e32 v105, v28, v105                              // 00000000C4B4: 0AD2D31C
	v_mul_f32_e32 v106, v28, v106                              // 00000000C4B8: 0AD4D51C
	v_mul_f32_e32 v107, v28, v107                              // 00000000C4BC: 0AD6D71C
	v_mul_f32_e32 v108, v28, v108                              // 00000000C4C0: 0AD8D91C
	v_mul_f32_e32 v109, v28, v109                              // 00000000C4C4: 0ADADB1C
	v_mul_f32_e32 v110, v28, v110                              // 00000000C4C8: 0ADCDD1C
	v_mul_f32_e32 v111, v28, v111                              // 00000000C4CC: 0ADEDF1C
	v_mul_f32_e32 v112, v28, v112                              // 00000000C4D0: 0AE0E11C
	v_mul_f32_e32 v113, v28, v113                              // 00000000C4D4: 0AE2E31C
	v_mul_f32_e32 v114, v28, v114                              // 00000000C4D8: 0AE4E51C
	v_mul_f32_e32 v115, v28, v115                              // 00000000C4DC: 0AE6E71C
	v_mul_f32_e32 v116, v28, v116                              // 00000000C4E0: 0AE8E91C
	v_mul_f32_e32 v117, v28, v117                              // 00000000C4E4: 0AEAEB1C
	v_mul_f32_e32 v118, v28, v118                              // 00000000C4E8: 0AECED1C
	v_mul_f32_e32 v119, v28, v119                              // 00000000C4EC: 0AEEEF1C
	v_mul_f32_e32 v120, v28, v120                              // 00000000C4F0: 0AF0F11C
	v_mul_f32_e32 v121, v28, v121                              // 00000000C4F4: 0AF2F31C
	v_mul_f32_e32 v122, v28, v122                              // 00000000C4F8: 0AF4F51C
	v_mul_f32_e32 v123, v28, v123                              // 00000000C4FC: 0AF6F71C
	v_mul_f32_e32 v124, v28, v124                              // 00000000C500: 0AF8F91C
	v_mul_f32_e32 v125, v28, v125                              // 00000000C504: 0AFAFB1C
	v_mul_f32_e32 v126, v28, v126                              // 00000000C508: 0AFCFD1C
	v_mul_f32_e32 v127, v28, v127                              // 00000000C50C: 0AFEFF1C
	v_mul_f32_e32 v128, v28, v128                              // 00000000C510: 0B01011C
	v_mul_f32_e32 v129, v28, v129                              // 00000000C514: 0B03031C
	v_mul_f32_e32 v130, v28, v130                              // 00000000C518: 0B05051C
	v_mul_f32_e32 v131, v28, v131                              // 00000000C51C: 0B07071C
	v_mul_f32_e32 v132, v28, v132                              // 00000000C520: 0B09091C
	v_mul_f32_e32 v133, v28, v133                              // 00000000C524: 0B0B0B1C
	v_mul_f32_e32 v134, v28, v134                              // 00000000C528: 0B0D0D1C
	v_mul_f32_e32 v135, v28, v135                              // 00000000C52C: 0B0F0F1C
	v_mul_f32_e32 v136, v28, v136                              // 00000000C530: 0B11111C
	v_mul_f32_e32 v137, v28, v137                              // 00000000C534: 0B13131C
	v_mul_f32_e32 v138, v28, v138                              // 00000000C538: 0B15151C
	v_mul_f32_e32 v139, v28, v139                              // 00000000C53C: 0B17171C
	v_mul_f32_e32 v140, v28, v140                              // 00000000C540: 0B19191C
	v_mul_f32_e32 v141, v28, v141                              // 00000000C544: 0B1B1B1C
	v_mul_f32_e32 v142, v28, v142                              // 00000000C548: 0B1D1D1C
	v_mul_f32_e32 v143, v28, v143                              // 00000000C54C: 0B1F1F1C
	v_mul_f32_e32 v144, v28, v144                              // 00000000C550: 0B21211C
	v_mul_f32_e32 v145, v28, v145                              // 00000000C554: 0B23231C
	v_mul_f32_e32 v146, v28, v146                              // 00000000C558: 0B25251C
	v_mul_f32_e32 v147, v28, v147                              // 00000000C55C: 0B27271C
	v_mul_f32_e32 v148, v28, v148                              // 00000000C560: 0B29291C
	v_mul_f32_e32 v149, v28, v149                              // 00000000C564: 0B2B2B1C
	v_mul_f32_e32 v150, v28, v150                              // 00000000C568: 0B2D2D1C
	v_mul_f32_e32 v151, v28, v151                              // 00000000C56C: 0B2F2F1C
	v_mul_f32_e32 v152, v28, v152                              // 00000000C570: 0B31311C
	v_mul_f32_e32 v153, v28, v153                              // 00000000C574: 0B33331C
	v_mul_f32_e32 v154, v28, v154                              // 00000000C578: 0B35351C
	v_mul_f32_e32 v155, v28, v155                              // 00000000C57C: 0B37371C
	v_mul_f32_e32 v156, v28, v156                              // 00000000C580: 0B39391C
	v_mul_f32_e32 v157, v28, v157                              // 00000000C584: 0B3B3B1C
	v_mul_f32_e32 v158, v28, v158                              // 00000000C588: 0B3D3D1C
	v_mul_f32_e32 v159, v28, v159                              // 00000000C58C: 0B3F3F1C
	v_mul_f32_e32 v160, v28, v160                              // 00000000C590: 0B41411C
	v_mul_f32_e32 v161, v28, v161                              // 00000000C594: 0B43431C
	v_mul_f32_e32 v162, v28, v162                              // 00000000C598: 0B45451C
	v_mul_f32_e32 v163, v28, v163                              // 00000000C59C: 0B47471C
	v_mul_f32_e32 v164, v28, v164                              // 00000000C5A0: 0B49491C
	v_mul_f32_e32 v165, v28, v165                              // 00000000C5A4: 0B4B4B1C
	v_mul_f32_e32 v166, v28, v166                              // 00000000C5A8: 0B4D4D1C
	v_mul_f32_e32 v167, v28, v167                              // 00000000C5AC: 0B4F4F1C
	v_mul_f32_e32 v168, v28, v168                              // 00000000C5B0: 0B51511C
	v_mul_f32_e32 v169, v28, v169                              // 00000000C5B4: 0B53531C
	v_mul_f32_e32 v170, v28, v170                              // 00000000C5B8: 0B55551C
	v_mul_f32_e32 v171, v28, v171                              // 00000000C5BC: 0B57571C
	v_mul_f32_e32 v172, v28, v172                              // 00000000C5C0: 0B59591C
	v_mul_f32_e32 v173, v28, v173                              // 00000000C5C4: 0B5B5B1C
	v_mul_f32_e32 v174, v28, v174                              // 00000000C5C8: 0B5D5D1C
	v_mul_f32_e32 v175, v28, v175                              // 00000000C5CC: 0B5F5F1C
	v_mul_f32_e32 v176, v28, v176                              // 00000000C5D0: 0B61611C
	v_mul_f32_e32 v177, v28, v177                              // 00000000C5D4: 0B63631C
	v_mul_f32_e32 v178, v28, v178                              // 00000000C5D8: 0B65651C
	v_mul_f32_e32 v179, v28, v179                              // 00000000C5DC: 0B67671C
	v_mul_f32_e32 v180, v28, v180                              // 00000000C5E0: 0B69691C
	v_mul_f32_e32 v181, v28, v181                              // 00000000C5E4: 0B6B6B1C
	v_mul_f32_e32 v182, v28, v182                              // 00000000C5E8: 0B6D6D1C
	v_mul_f32_e32 v183, v28, v183                              // 00000000C5EC: 0B6F6F1C
	v_mul_f32_e32 v184, v28, v184                              // 00000000C5F0: 0B71711C
	v_mul_f32_e32 v185, v28, v185                              // 00000000C5F4: 0B73731C
	v_mul_f32_e32 v186, v28, v186                              // 00000000C5F8: 0B75751C
	v_mul_f32_e32 v187, v28, v187                              // 00000000C5FC: 0B77771C
	v_mul_f32_e32 v188, v28, v188                              // 00000000C600: 0B79791C
	v_mul_f32_e32 v189, v28, v189                              // 00000000C604: 0B7B7B1C
	v_mul_f32_e32 v190, v28, v190                              // 00000000C608: 0B7D7D1C
	v_mul_f32_e32 v191, v28, v191                              // 00000000C60C: 0B7F7F1C
	v_mul_f32_e32 v192, v28, v192                              // 00000000C610: 0B81811C
	v_mul_f32_e32 v193, v28, v193                              // 00000000C614: 0B83831C
	v_mul_f32_e32 v194, v28, v194                              // 00000000C618: 0B85851C
	v_mul_f32_e32 v195, v28, v195                              // 00000000C61C: 0B87871C
	v_mul_f32_e32 v196, v28, v196                              // 00000000C620: 0B89891C
	v_mul_f32_e32 v197, v28, v197                              // 00000000C624: 0B8B8B1C
	v_mul_f32_e32 v198, v28, v198                              // 00000000C628: 0B8D8D1C
	v_mul_f32_e32 v199, v28, v199                              // 00000000C62C: 0B8F8F1C
	v_mul_f32_e32 v200, v28, v200                              // 00000000C630: 0B91911C
	v_mul_f32_e32 v201, v28, v201                              // 00000000C634: 0B93931C
	v_mul_f32_e32 v202, v28, v202                              // 00000000C638: 0B95951C
	v_mul_f32_e32 v203, v28, v203                              // 00000000C63C: 0B97971C
	v_mul_f32_e32 v204, v28, v204                              // 00000000C640: 0B99991C
	v_mul_f32_e32 v205, v28, v205                              // 00000000C644: 0B9B9B1C
	v_mul_f32_e32 v206, v28, v206                              // 00000000C648: 0B9D9D1C
	v_mul_f32_e32 v207, v28, v207                              // 00000000C64C: 0B9F9F1C
	v_mul_f32_e32 v208, v28, v208                              // 00000000C650: 0BA1A11C
	v_mul_f32_e32 v209, v28, v209                              // 00000000C654: 0BA3A31C
	v_mul_f32_e32 v210, v28, v210                              // 00000000C658: 0BA5A51C
	v_mul_f32_e32 v211, v28, v211                              // 00000000C65C: 0BA7A71C
	v_mul_f32_e32 v212, v28, v212                              // 00000000C660: 0BA9A91C
	v_mul_f32_e32 v213, v28, v213                              // 00000000C664: 0BABAB1C
	v_mul_f32_e32 v214, v28, v214                              // 00000000C668: 0BADAD1C
	v_mul_f32_e32 v215, v28, v215                              // 00000000C66C: 0BAFAF1C
	v_mul_f32_e32 v216, v28, v216                              // 00000000C670: 0BB1B11C
	v_mul_f32_e32 v217, v28, v217                              // 00000000C674: 0BB3B31C
	v_mul_f32_e32 v218, v28, v218                              // 00000000C678: 0BB5B51C
	v_mul_f32_e32 v219, v28, v219                              // 00000000C67C: 0BB7B71C
	v_mul_f32_e32 v220, v28, v220                              // 00000000C680: 0BB9B91C
	v_mul_f32_e32 v221, v28, v221                              // 00000000C684: 0BBBBB1C
	v_mul_f32_e32 v222, v28, v222                              // 00000000C688: 0BBDBD1C
	v_mul_f32_e32 v223, v28, v223                              // 00000000C68C: 0BBFBF1C
	v_accvgpr_read_b32 v29, a144                               // 00000000C690: D3D8401D 18000190
	v_mul_f32_e32 v29, v28, v29                                // 00000000C698: 0A3A3B1C
	v_accvgpr_write_b32 a144, v29                              // 00000000C69C: D3D94090 1800011D
	v_accvgpr_read_b32 v29, a145                               // 00000000C6A4: D3D8401D 18000191
	v_mul_f32_e32 v29, v28, v29                                // 00000000C6AC: 0A3A3B1C
	v_accvgpr_write_b32 a145, v29                              // 00000000C6B0: D3D94091 1800011D
	v_accvgpr_read_b32 v29, a146                               // 00000000C6B8: D3D8401D 18000192
	v_mul_f32_e32 v29, v28, v29                                // 00000000C6C0: 0A3A3B1C
	v_accvgpr_write_b32 a146, v29                              // 00000000C6C4: D3D94092 1800011D
	v_accvgpr_read_b32 v29, a147                               // 00000000C6CC: D3D8401D 18000193
	v_mul_f32_e32 v29, v28, v29                                // 00000000C6D4: 0A3A3B1C
	v_accvgpr_write_b32 a147, v29                              // 00000000C6D8: D3D94093 1800011D
	v_accvgpr_read_b32 v29, a148                               // 00000000C6E0: D3D8401D 18000194
	v_mul_f32_e32 v29, v28, v29                                // 00000000C6E8: 0A3A3B1C
	v_accvgpr_write_b32 a148, v29                              // 00000000C6EC: D3D94094 1800011D
	v_accvgpr_read_b32 v29, a149                               // 00000000C6F4: D3D8401D 18000195
	v_mul_f32_e32 v29, v28, v29                                // 00000000C6FC: 0A3A3B1C
	v_accvgpr_write_b32 a149, v29                              // 00000000C700: D3D94095 1800011D
	v_accvgpr_read_b32 v29, a150                               // 00000000C708: D3D8401D 18000196
	v_mul_f32_e32 v29, v28, v29                                // 00000000C710: 0A3A3B1C
	v_accvgpr_write_b32 a150, v29                              // 00000000C714: D3D94096 1800011D
	v_accvgpr_read_b32 v29, a151                               // 00000000C71C: D3D8401D 18000197
	v_mul_f32_e32 v29, v28, v29                                // 00000000C724: 0A3A3B1C
	v_accvgpr_write_b32 a151, v29                              // 00000000C728: D3D94097 1800011D
	v_accvgpr_read_b32 v29, a152                               // 00000000C730: D3D8401D 18000198
	v_mul_f32_e32 v29, v28, v29                                // 00000000C738: 0A3A3B1C
	v_accvgpr_write_b32 a152, v29                              // 00000000C73C: D3D94098 1800011D
	v_accvgpr_read_b32 v29, a153                               // 00000000C744: D3D8401D 18000199
	v_mul_f32_e32 v29, v28, v29                                // 00000000C74C: 0A3A3B1C
	v_accvgpr_write_b32 a153, v29                              // 00000000C750: D3D94099 1800011D
	v_accvgpr_read_b32 v29, a154                               // 00000000C758: D3D8401D 1800019A
	v_mul_f32_e32 v29, v28, v29                                // 00000000C760: 0A3A3B1C
	v_accvgpr_write_b32 a154, v29                              // 00000000C764: D3D9409A 1800011D
	v_accvgpr_read_b32 v29, a155                               // 00000000C76C: D3D8401D 1800019B
	v_mul_f32_e32 v29, v28, v29                                // 00000000C774: 0A3A3B1C
	v_accvgpr_write_b32 a155, v29                              // 00000000C778: D3D9409B 1800011D
	v_accvgpr_read_b32 v29, a156                               // 00000000C780: D3D8401D 1800019C
	v_mul_f32_e32 v29, v28, v29                                // 00000000C788: 0A3A3B1C
	v_accvgpr_write_b32 a156, v29                              // 00000000C78C: D3D9409C 1800011D
	v_accvgpr_read_b32 v29, a157                               // 00000000C794: D3D8401D 1800019D
	v_mul_f32_e32 v29, v28, v29                                // 00000000C79C: 0A3A3B1C
	v_accvgpr_write_b32 a157, v29                              // 00000000C7A0: D3D9409D 1800011D
	v_accvgpr_read_b32 v29, a158                               // 00000000C7A8: D3D8401D 1800019E
	v_mul_f32_e32 v29, v28, v29                                // 00000000C7B0: 0A3A3B1C
	v_accvgpr_write_b32 a158, v29                              // 00000000C7B4: D3D9409E 1800011D
	v_accvgpr_read_b32 v29, a159                               // 00000000C7BC: D3D8401D 1800019F
	v_mul_f32_e32 v29, v28, v29                                // 00000000C7C4: 0A3A3B1C
	v_accvgpr_write_b32 a159, v29                              // 00000000C7C8: D3D9409F 1800011D
	v_accvgpr_read_b32 v29, a160                               // 00000000C7D0: D3D8401D 180001A0
	v_mul_f32_e32 v29, v28, v29                                // 00000000C7D8: 0A3A3B1C
	v_accvgpr_write_b32 a160, v29                              // 00000000C7DC: D3D940A0 1800011D
	v_accvgpr_read_b32 v29, a161                               // 00000000C7E4: D3D8401D 180001A1
	v_mul_f32_e32 v29, v28, v29                                // 00000000C7EC: 0A3A3B1C
	v_accvgpr_write_b32 a161, v29                              // 00000000C7F0: D3D940A1 1800011D
	v_accvgpr_read_b32 v29, a162                               // 00000000C7F8: D3D8401D 180001A2
	v_mul_f32_e32 v29, v28, v29                                // 00000000C800: 0A3A3B1C
	v_accvgpr_write_b32 a162, v29                              // 00000000C804: D3D940A2 1800011D
	v_accvgpr_read_b32 v29, a163                               // 00000000C80C: D3D8401D 180001A3
	v_mul_f32_e32 v29, v28, v29                                // 00000000C814: 0A3A3B1C
	v_accvgpr_write_b32 a163, v29                              // 00000000C818: D3D940A3 1800011D
	v_accvgpr_read_b32 v29, a164                               // 00000000C820: D3D8401D 180001A4
	v_mul_f32_e32 v29, v28, v29                                // 00000000C828: 0A3A3B1C
	v_accvgpr_write_b32 a164, v29                              // 00000000C82C: D3D940A4 1800011D
	v_accvgpr_read_b32 v29, a165                               // 00000000C834: D3D8401D 180001A5
	v_mul_f32_e32 v29, v28, v29                                // 00000000C83C: 0A3A3B1C
	v_accvgpr_write_b32 a165, v29                              // 00000000C840: D3D940A5 1800011D
	v_accvgpr_read_b32 v29, a166                               // 00000000C848: D3D8401D 180001A6
	v_mul_f32_e32 v29, v28, v29                                // 00000000C850: 0A3A3B1C
	v_accvgpr_write_b32 a166, v29                              // 00000000C854: D3D940A6 1800011D
	v_accvgpr_read_b32 v29, a167                               // 00000000C85C: D3D8401D 180001A7
	v_mul_f32_e32 v29, v28, v29                                // 00000000C864: 0A3A3B1C
	v_accvgpr_write_b32 a167, v29                              // 00000000C868: D3D940A7 1800011D
	v_accvgpr_read_b32 v29, a168                               // 00000000C870: D3D8401D 180001A8
	v_mul_f32_e32 v29, v28, v29                                // 00000000C878: 0A3A3B1C
	v_accvgpr_write_b32 a168, v29                              // 00000000C87C: D3D940A8 1800011D
	v_accvgpr_read_b32 v29, a169                               // 00000000C884: D3D8401D 180001A9
	v_mul_f32_e32 v29, v28, v29                                // 00000000C88C: 0A3A3B1C
	v_accvgpr_write_b32 a169, v29                              // 00000000C890: D3D940A9 1800011D
	v_accvgpr_read_b32 v29, a170                               // 00000000C898: D3D8401D 180001AA
	v_mul_f32_e32 v29, v28, v29                                // 00000000C8A0: 0A3A3B1C
	v_accvgpr_write_b32 a170, v29                              // 00000000C8A4: D3D940AA 1800011D
	v_accvgpr_read_b32 v29, a171                               // 00000000C8AC: D3D8401D 180001AB
	v_mul_f32_e32 v29, v28, v29                                // 00000000C8B4: 0A3A3B1C
	v_accvgpr_write_b32 a171, v29                              // 00000000C8B8: D3D940AB 1800011D
	v_accvgpr_read_b32 v29, a172                               // 00000000C8C0: D3D8401D 180001AC
	v_mul_f32_e32 v29, v28, v29                                // 00000000C8C8: 0A3A3B1C
	v_accvgpr_write_b32 a172, v29                              // 00000000C8CC: D3D940AC 1800011D
	v_accvgpr_read_b32 v29, a173                               // 00000000C8D4: D3D8401D 180001AD
	v_mul_f32_e32 v29, v28, v29                                // 00000000C8DC: 0A3A3B1C
	v_accvgpr_write_b32 a173, v29                              // 00000000C8E0: D3D940AD 1800011D
	v_accvgpr_read_b32 v29, a174                               // 00000000C8E8: D3D8401D 180001AE
	v_mul_f32_e32 v29, v28, v29                                // 00000000C8F0: 0A3A3B1C
	v_accvgpr_write_b32 a174, v29                              // 00000000C8F4: D3D940AE 1800011D
	v_accvgpr_read_b32 v29, a175                               // 00000000C8FC: D3D8401D 180001AF
	v_mul_f32_e32 v29, v28, v29                                // 00000000C904: 0A3A3B1C
	v_accvgpr_write_b32 a175, v29                              // 00000000C908: D3D940AF 1800011D
	v_accvgpr_read_b32 v29, a176                               // 00000000C910: D3D8401D 180001B0
	v_mul_f32_e32 v29, v28, v29                                // 00000000C918: 0A3A3B1C
	v_accvgpr_write_b32 a176, v29                              // 00000000C91C: D3D940B0 1800011D
	v_accvgpr_read_b32 v29, a177                               // 00000000C924: D3D8401D 180001B1
	v_mul_f32_e32 v29, v28, v29                                // 00000000C92C: 0A3A3B1C
	v_accvgpr_write_b32 a177, v29                              // 00000000C930: D3D940B1 1800011D
	v_accvgpr_read_b32 v29, a178                               // 00000000C938: D3D8401D 180001B2
	v_mul_f32_e32 v29, v28, v29                                // 00000000C940: 0A3A3B1C
	v_accvgpr_write_b32 a178, v29                              // 00000000C944: D3D940B2 1800011D
	v_accvgpr_read_b32 v29, a179                               // 00000000C94C: D3D8401D 180001B3
	v_mul_f32_e32 v29, v28, v29                                // 00000000C954: 0A3A3B1C
	v_accvgpr_write_b32 a179, v29                              // 00000000C958: D3D940B3 1800011D
	v_accvgpr_read_b32 v29, a180                               // 00000000C960: D3D8401D 180001B4
	v_mul_f32_e32 v29, v28, v29                                // 00000000C968: 0A3A3B1C
	v_accvgpr_write_b32 a180, v29                              // 00000000C96C: D3D940B4 1800011D
	v_accvgpr_read_b32 v29, a181                               // 00000000C974: D3D8401D 180001B5
	v_mul_f32_e32 v29, v28, v29                                // 00000000C97C: 0A3A3B1C
	v_accvgpr_write_b32 a181, v29                              // 00000000C980: D3D940B5 1800011D
	v_accvgpr_read_b32 v29, a182                               // 00000000C988: D3D8401D 180001B6
	v_mul_f32_e32 v29, v28, v29                                // 00000000C990: 0A3A3B1C
	v_accvgpr_write_b32 a182, v29                              // 00000000C994: D3D940B6 1800011D
	v_accvgpr_read_b32 v29, a183                               // 00000000C99C: D3D8401D 180001B7
	v_mul_f32_e32 v29, v28, v29                                // 00000000C9A4: 0A3A3B1C
	v_accvgpr_write_b32 a183, v29                              // 00000000C9A8: D3D940B7 1800011D
	v_accvgpr_read_b32 v29, a184                               // 00000000C9B0: D3D8401D 180001B8
	v_mul_f32_e32 v29, v28, v29                                // 00000000C9B8: 0A3A3B1C
	v_accvgpr_write_b32 a184, v29                              // 00000000C9BC: D3D940B8 1800011D
	v_accvgpr_read_b32 v29, a185                               // 00000000C9C4: D3D8401D 180001B9
	v_mul_f32_e32 v29, v28, v29                                // 00000000C9CC: 0A3A3B1C
	v_accvgpr_write_b32 a185, v29                              // 00000000C9D0: D3D940B9 1800011D
	v_accvgpr_read_b32 v29, a186                               // 00000000C9D8: D3D8401D 180001BA
	v_mul_f32_e32 v29, v28, v29                                // 00000000C9E0: 0A3A3B1C
	v_accvgpr_write_b32 a186, v29                              // 00000000C9E4: D3D940BA 1800011D
	v_accvgpr_read_b32 v29, a187                               // 00000000C9EC: D3D8401D 180001BB
	v_mul_f32_e32 v29, v28, v29                                // 00000000C9F4: 0A3A3B1C
	v_accvgpr_write_b32 a187, v29                              // 00000000C9F8: D3D940BB 1800011D
	v_accvgpr_read_b32 v29, a188                               // 00000000CA00: D3D8401D 180001BC
	v_mul_f32_e32 v29, v28, v29                                // 00000000CA08: 0A3A3B1C
	v_accvgpr_write_b32 a188, v29                              // 00000000CA0C: D3D940BC 1800011D
	v_accvgpr_read_b32 v29, a189                               // 00000000CA14: D3D8401D 180001BD
	v_mul_f32_e32 v29, v28, v29                                // 00000000CA1C: 0A3A3B1C
	v_accvgpr_write_b32 a189, v29                              // 00000000CA20: D3D940BD 1800011D
	v_accvgpr_read_b32 v29, a190                               // 00000000CA28: D3D8401D 180001BE
	v_mul_f32_e32 v29, v28, v29                                // 00000000CA30: 0A3A3B1C
	v_accvgpr_write_b32 a190, v29                              // 00000000CA34: D3D940BE 1800011D
	v_accvgpr_read_b32 v29, a191                               // 00000000CA3C: D3D8401D 180001BF
	v_mul_f32_e32 v29, v28, v29                                // 00000000CA44: 0A3A3B1C
	v_accvgpr_write_b32 a191, v29                              // 00000000CA48: D3D940BF 1800011D
	v_accvgpr_read_b32 v29, a192                               // 00000000CA50: D3D8401D 180001C0
	v_mul_f32_e32 v29, v28, v29                                // 00000000CA58: 0A3A3B1C
	v_accvgpr_write_b32 a192, v29                              // 00000000CA5C: D3D940C0 1800011D
	v_accvgpr_read_b32 v29, a193                               // 00000000CA64: D3D8401D 180001C1
	v_mul_f32_e32 v29, v28, v29                                // 00000000CA6C: 0A3A3B1C
	v_accvgpr_write_b32 a193, v29                              // 00000000CA70: D3D940C1 1800011D
	v_accvgpr_read_b32 v29, a194                               // 00000000CA78: D3D8401D 180001C2
	v_mul_f32_e32 v29, v28, v29                                // 00000000CA80: 0A3A3B1C
	v_accvgpr_write_b32 a194, v29                              // 00000000CA84: D3D940C2 1800011D
	v_accvgpr_read_b32 v29, a195                               // 00000000CA8C: D3D8401D 180001C3
	v_mul_f32_e32 v29, v28, v29                                // 00000000CA94: 0A3A3B1C
	v_accvgpr_write_b32 a195, v29                              // 00000000CA98: D3D940C3 1800011D
	v_accvgpr_read_b32 v29, a196                               // 00000000CAA0: D3D8401D 180001C4
	v_mul_f32_e32 v29, v28, v29                                // 00000000CAA8: 0A3A3B1C
	v_accvgpr_write_b32 a196, v29                              // 00000000CAAC: D3D940C4 1800011D
	v_accvgpr_read_b32 v29, a197                               // 00000000CAB4: D3D8401D 180001C5
	v_mul_f32_e32 v29, v28, v29                                // 00000000CABC: 0A3A3B1C
	v_accvgpr_write_b32 a197, v29                              // 00000000CAC0: D3D940C5 1800011D
	v_accvgpr_read_b32 v29, a198                               // 00000000CAC8: D3D8401D 180001C6
	v_mul_f32_e32 v29, v28, v29                                // 00000000CAD0: 0A3A3B1C
	v_accvgpr_write_b32 a198, v29                              // 00000000CAD4: D3D940C6 1800011D
	v_accvgpr_read_b32 v29, a199                               // 00000000CADC: D3D8401D 180001C7
	v_mul_f32_e32 v29, v28, v29                                // 00000000CAE4: 0A3A3B1C
	v_accvgpr_write_b32 a199, v29                              // 00000000CAE8: D3D940C7 1800011D
	v_accvgpr_read_b32 v29, a200                               // 00000000CAF0: D3D8401D 180001C8
	v_mul_f32_e32 v29, v28, v29                                // 00000000CAF8: 0A3A3B1C
	v_accvgpr_write_b32 a200, v29                              // 00000000CAFC: D3D940C8 1800011D
	v_accvgpr_read_b32 v29, a201                               // 00000000CB04: D3D8401D 180001C9
	v_mul_f32_e32 v29, v28, v29                                // 00000000CB0C: 0A3A3B1C
	v_accvgpr_write_b32 a201, v29                              // 00000000CB10: D3D940C9 1800011D
	v_accvgpr_read_b32 v29, a202                               // 00000000CB18: D3D8401D 180001CA
	v_mul_f32_e32 v29, v28, v29                                // 00000000CB20: 0A3A3B1C
	v_accvgpr_write_b32 a202, v29                              // 00000000CB24: D3D940CA 1800011D
	v_accvgpr_read_b32 v29, a203                               // 00000000CB2C: D3D8401D 180001CB
	v_mul_f32_e32 v29, v28, v29                                // 00000000CB34: 0A3A3B1C
	v_accvgpr_write_b32 a203, v29                              // 00000000CB38: D3D940CB 1800011D
	v_accvgpr_read_b32 v29, a204                               // 00000000CB40: D3D8401D 180001CC
	v_mul_f32_e32 v29, v28, v29                                // 00000000CB48: 0A3A3B1C
	v_accvgpr_write_b32 a204, v29                              // 00000000CB4C: D3D940CC 1800011D
	v_accvgpr_read_b32 v29, a205                               // 00000000CB54: D3D8401D 180001CD
	v_mul_f32_e32 v29, v28, v29                                // 00000000CB5C: 0A3A3B1C
	v_accvgpr_write_b32 a205, v29                              // 00000000CB60: D3D940CD 1800011D
	v_accvgpr_read_b32 v29, a206                               // 00000000CB68: D3D8401D 180001CE
	v_mul_f32_e32 v29, v28, v29                                // 00000000CB70: 0A3A3B1C
	v_accvgpr_write_b32 a206, v29                              // 00000000CB74: D3D940CE 1800011D
	v_accvgpr_read_b32 v29, a207                               // 00000000CB7C: D3D8401D 180001CF
	v_mul_f32_e32 v29, v28, v29                                // 00000000CB84: 0A3A3B1C
	v_accvgpr_write_b32 a207, v29                              // 00000000CB88: D3D940CF 1800011D
	v_accvgpr_read_b32 v29, a208                               // 00000000CB90: D3D8401D 180001D0
	v_mul_f32_e32 v29, v28, v29                                // 00000000CB98: 0A3A3B1C
	v_accvgpr_write_b32 a208, v29                              // 00000000CB9C: D3D940D0 1800011D
	v_accvgpr_read_b32 v29, a209                               // 00000000CBA4: D3D8401D 180001D1
	v_mul_f32_e32 v29, v28, v29                                // 00000000CBAC: 0A3A3B1C
	v_accvgpr_write_b32 a209, v29                              // 00000000CBB0: D3D940D1 1800011D
	v_accvgpr_read_b32 v29, a210                               // 00000000CBB8: D3D8401D 180001D2
	v_mul_f32_e32 v29, v28, v29                                // 00000000CBC0: 0A3A3B1C
	v_accvgpr_write_b32 a210, v29                              // 00000000CBC4: D3D940D2 1800011D
	v_accvgpr_read_b32 v29, a211                               // 00000000CBCC: D3D8401D 180001D3
	v_mul_f32_e32 v29, v28, v29                                // 00000000CBD4: 0A3A3B1C
	v_accvgpr_write_b32 a211, v29                              // 00000000CBD8: D3D940D3 1800011D
	v_accvgpr_read_b32 v29, a212                               // 00000000CBE0: D3D8401D 180001D4
	v_mul_f32_e32 v29, v28, v29                                // 00000000CBE8: 0A3A3B1C
	v_accvgpr_write_b32 a212, v29                              // 00000000CBEC: D3D940D4 1800011D
	v_accvgpr_read_b32 v29, a213                               // 00000000CBF4: D3D8401D 180001D5
	v_mul_f32_e32 v29, v28, v29                                // 00000000CBFC: 0A3A3B1C
	v_accvgpr_write_b32 a213, v29                              // 00000000CC00: D3D940D5 1800011D
	v_accvgpr_read_b32 v29, a214                               // 00000000CC08: D3D8401D 180001D6
	v_mul_f32_e32 v29, v28, v29                                // 00000000CC10: 0A3A3B1C
	v_accvgpr_write_b32 a214, v29                              // 00000000CC14: D3D940D6 1800011D
	v_accvgpr_read_b32 v29, a215                               // 00000000CC1C: D3D8401D 180001D7
	v_mul_f32_e32 v29, v28, v29                                // 00000000CC24: 0A3A3B1C
	v_accvgpr_write_b32 a215, v29                              // 00000000CC28: D3D940D7 1800011D
	v_accvgpr_read_b32 v29, a216                               // 00000000CC30: D3D8401D 180001D8
	v_mul_f32_e32 v29, v28, v29                                // 00000000CC38: 0A3A3B1C
	v_accvgpr_write_b32 a216, v29                              // 00000000CC3C: D3D940D8 1800011D
	v_accvgpr_read_b32 v29, a217                               // 00000000CC44: D3D8401D 180001D9
	v_mul_f32_e32 v29, v28, v29                                // 00000000CC4C: 0A3A3B1C
	v_accvgpr_write_b32 a217, v29                              // 00000000CC50: D3D940D9 1800011D
	v_accvgpr_read_b32 v29, a218                               // 00000000CC58: D3D8401D 180001DA
	v_mul_f32_e32 v29, v28, v29                                // 00000000CC60: 0A3A3B1C
	v_accvgpr_write_b32 a218, v29                              // 00000000CC64: D3D940DA 1800011D
	v_accvgpr_read_b32 v29, a219                               // 00000000CC6C: D3D8401D 180001DB
	v_mul_f32_e32 v29, v28, v29                                // 00000000CC74: 0A3A3B1C
	v_accvgpr_write_b32 a219, v29                              // 00000000CC78: D3D940DB 1800011D
	v_accvgpr_read_b32 v29, a220                               // 00000000CC80: D3D8401D 180001DC
	v_mul_f32_e32 v29, v28, v29                                // 00000000CC88: 0A3A3B1C
	v_accvgpr_write_b32 a220, v29                              // 00000000CC8C: D3D940DC 1800011D
	v_accvgpr_read_b32 v29, a221                               // 00000000CC94: D3D8401D 180001DD
	v_mul_f32_e32 v29, v28, v29                                // 00000000CC9C: 0A3A3B1C
	v_accvgpr_write_b32 a221, v29                              // 00000000CCA0: D3D940DD 1800011D
	v_accvgpr_read_b32 v29, a222                               // 00000000CCA8: D3D8401D 180001DE
	v_mul_f32_e32 v29, v28, v29                                // 00000000CCB0: 0A3A3B1C
	v_accvgpr_write_b32 a222, v29                              // 00000000CCB4: D3D940DE 1800011D
	v_accvgpr_read_b32 v29, a223                               // 00000000CCBC: D3D8401D 180001DF
	v_mul_f32_e32 v29, v28, v29                                // 00000000CCC4: 0A3A3B1C
	v_accvgpr_write_b32 a223, v29                              // 00000000CCC8: D3D940DF 1800011D
	v_accvgpr_read_b32 v29, a224                               // 00000000CCD0: D3D8401D 180001E0
	v_mul_f32_e32 v29, v28, v29                                // 00000000CCD8: 0A3A3B1C
	v_accvgpr_write_b32 a224, v29                              // 00000000CCDC: D3D940E0 1800011D
	v_accvgpr_read_b32 v29, a225                               // 00000000CCE4: D3D8401D 180001E1
	v_mul_f32_e32 v29, v28, v29                                // 00000000CCEC: 0A3A3B1C
	v_accvgpr_write_b32 a225, v29                              // 00000000CCF0: D3D940E1 1800011D
	v_accvgpr_read_b32 v29, a226                               // 00000000CCF8: D3D8401D 180001E2
	v_mul_f32_e32 v29, v28, v29                                // 00000000CD00: 0A3A3B1C
	v_accvgpr_write_b32 a226, v29                              // 00000000CD04: D3D940E2 1800011D
	v_accvgpr_read_b32 v29, a227                               // 00000000CD0C: D3D8401D 180001E3
	v_mul_f32_e32 v29, v28, v29                                // 00000000CD14: 0A3A3B1C
	v_accvgpr_write_b32 a227, v29                              // 00000000CD18: D3D940E3 1800011D
	v_accvgpr_read_b32 v29, a228                               // 00000000CD20: D3D8401D 180001E4
	v_mul_f32_e32 v29, v28, v29                                // 00000000CD28: 0A3A3B1C
	v_accvgpr_write_b32 a228, v29                              // 00000000CD2C: D3D940E4 1800011D
	v_accvgpr_read_b32 v29, a229                               // 00000000CD34: D3D8401D 180001E5
	v_mul_f32_e32 v29, v28, v29                                // 00000000CD3C: 0A3A3B1C
	v_accvgpr_write_b32 a229, v29                              // 00000000CD40: D3D940E5 1800011D
	v_accvgpr_read_b32 v29, a230                               // 00000000CD48: D3D8401D 180001E6
	v_mul_f32_e32 v29, v28, v29                                // 00000000CD50: 0A3A3B1C
	v_accvgpr_write_b32 a230, v29                              // 00000000CD54: D3D940E6 1800011D
	v_accvgpr_read_b32 v29, a231                               // 00000000CD5C: D3D8401D 180001E7
	v_mul_f32_e32 v29, v28, v29                                // 00000000CD64: 0A3A3B1C
	v_accvgpr_write_b32 a231, v29                              // 00000000CD68: D3D940E7 1800011D
	v_accvgpr_read_b32 v29, a232                               // 00000000CD70: D3D8401D 180001E8
	v_mul_f32_e32 v29, v28, v29                                // 00000000CD78: 0A3A3B1C
	v_accvgpr_write_b32 a232, v29                              // 00000000CD7C: D3D940E8 1800011D
	v_accvgpr_read_b32 v29, a233                               // 00000000CD84: D3D8401D 180001E9
	v_mul_f32_e32 v29, v28, v29                                // 00000000CD8C: 0A3A3B1C
	v_accvgpr_write_b32 a233, v29                              // 00000000CD90: D3D940E9 1800011D
	v_accvgpr_read_b32 v29, a234                               // 00000000CD98: D3D8401D 180001EA
	v_mul_f32_e32 v29, v28, v29                                // 00000000CDA0: 0A3A3B1C
	v_accvgpr_write_b32 a234, v29                              // 00000000CDA4: D3D940EA 1800011D
	v_accvgpr_read_b32 v29, a235                               // 00000000CDAC: D3D8401D 180001EB
	v_mul_f32_e32 v29, v28, v29                                // 00000000CDB4: 0A3A3B1C
	v_accvgpr_write_b32 a235, v29                              // 00000000CDB8: D3D940EB 1800011D
	v_accvgpr_read_b32 v29, a236                               // 00000000CDC0: D3D8401D 180001EC
	v_mul_f32_e32 v29, v28, v29                                // 00000000CDC8: 0A3A3B1C
	v_accvgpr_write_b32 a236, v29                              // 00000000CDCC: D3D940EC 1800011D
	v_accvgpr_read_b32 v29, a237                               // 00000000CDD4: D3D8401D 180001ED
	v_mul_f32_e32 v29, v28, v29                                // 00000000CDDC: 0A3A3B1C
	v_accvgpr_write_b32 a237, v29                              // 00000000CDE0: D3D940ED 1800011D
	v_accvgpr_read_b32 v29, a238                               // 00000000CDE8: D3D8401D 180001EE
	v_mul_f32_e32 v29, v28, v29                                // 00000000CDF0: 0A3A3B1C
	v_accvgpr_write_b32 a238, v29                              // 00000000CDF4: D3D940EE 1800011D
	v_accvgpr_read_b32 v29, a239                               // 00000000CDFC: D3D8401D 180001EF
	v_mul_f32_e32 v29, v28, v29                                // 00000000CE04: 0A3A3B1C
	v_accvgpr_write_b32 a239, v29                              // 00000000CE08: D3D940EF 1800011D
	v_mfma_f32_32x32x64_f8f6f4 v[64:79], a[72:79], v[32:39], v[64:79]// 00000000CE10: D3AE0040 0D024148
	v_mfma_f32_32x32x64_f8f6f4 v[80:95], a[80:87], v[32:39], v[80:95]// 00000000CE18: D3AE0050 0D424150
	v_mfma_f32_32x32x64_f8f6f4 v[96:111], a[88:95], v[32:39], v[96:111]// 00000000CE20: D3AE0060 0D824158
	v_mfma_f32_32x32x64_f8f6f4 v[112:127], a[96:103], v[32:39], v[112:127]// 00000000CE28: D3AE0070 0DC24160
	v_mfma_f32_32x32x64_f8f6f4 v[128:143], a[104:111], v[32:39], v[128:143]// 00000000CE30: D3AE0080 0E024168
	v_mfma_f32_32x32x64_f8f6f4 v[144:159], a[112:119], v[32:39], v[144:159]// 00000000CE38: D3AE0090 0E424170
	v_mfma_f32_32x32x64_f8f6f4 v[160:175], a[120:127], v[32:39], v[160:175]// 00000000CE40: D3AE00A0 0E824178
	v_mfma_f32_32x32x64_f8f6f4 v[176:191], a[128:135], v[32:39], v[176:191]// 00000000CE48: D3AE00B0 0EC24180
	ds_read_b64_tr_b8 a[72:73], v5 offset:4096                 // 00000000CE50: DBC41000 48000005
	ds_read_b64_tr_b8 a[74:75], v6 offset:4096                 // 00000000CE58: DBC41000 4A000006
	ds_read_b64_tr_b8 a[76:77], v5 offset:22528                // 00000000CE60: DBC45800 4C000005
	ds_read_b64_tr_b8 a[78:79], v6 offset:22528                // 00000000CE68: DBC45800 4E000006
	ds_read_b64_tr_b8 a[80:81], v7 offset:4096                 // 00000000CE70: DBC41000 50000007
	ds_read_b64_tr_b8 a[82:83], v8 offset:4096                 // 00000000CE78: DBC41000 52000008
	ds_read_b64_tr_b8 a[84:85], v7 offset:22528                // 00000000CE80: DBC45800 54000007
	ds_read_b64_tr_b8 a[86:87], v8 offset:22528                // 00000000CE88: DBC45800 56000008
	ds_read_b64_tr_b8 a[88:89], v5 offset:5120                 // 00000000CE90: DBC41400 58000005
	ds_read_b64_tr_b8 a[90:91], v6 offset:5120                 // 00000000CE98: DBC41400 5A000006
	ds_read_b64_tr_b8 a[92:93], v5 offset:23552                // 00000000CEA0: DBC45C00 5C000005
	ds_read_b64_tr_b8 a[94:95], v6 offset:23552                // 00000000CEA8: DBC45C00 5E000006
	ds_read_b64_tr_b8 a[96:97], v7 offset:5120                 // 00000000CEB0: DBC41400 60000007
	ds_read_b64_tr_b8 a[98:99], v8 offset:5120                 // 00000000CEB8: DBC41400 62000008
	ds_read_b64_tr_b8 a[100:101], v7 offset:23552              // 00000000CEC0: DBC45C00 64000007
	ds_read_b64_tr_b8 a[102:103], v8 offset:23552              // 00000000CEC8: DBC45C00 66000008
	ds_read_b64_tr_b8 a[104:105], v5 offset:6144               // 00000000CED0: DBC41800 68000005
	ds_read_b64_tr_b8 a[106:107], v6 offset:6144               // 00000000CED8: DBC41800 6A000006
	ds_read_b64_tr_b8 a[108:109], v5 offset:24576              // 00000000CEE0: DBC46000 6C000005
	ds_read_b64_tr_b8 a[110:111], v6 offset:24576              // 00000000CEE8: DBC46000 6E000006
	ds_read_b64_tr_b8 a[112:113], v7 offset:6144               // 00000000CEF0: DBC41800 70000007
	ds_read_b64_tr_b8 a[114:115], v8 offset:6144               // 00000000CEF8: DBC41800 72000008
	ds_read_b64_tr_b8 a[116:117], v7 offset:24576              // 00000000CF00: DBC46000 74000007
	ds_read_b64_tr_b8 a[118:119], v8 offset:24576              // 00000000CF08: DBC46000 76000008
	ds_read_b64_tr_b8 a[120:121], v5 offset:7168               // 00000000CF10: DBC41C00 78000005
	ds_read_b64_tr_b8 a[122:123], v6 offset:7168               // 00000000CF18: DBC41C00 7A000006
	ds_read_b64_tr_b8 a[124:125], v5 offset:25600              // 00000000CF20: DBC46400 7C000005
	ds_read_b64_tr_b8 a[126:127], v6 offset:25600              // 00000000CF28: DBC46400 7E000006
	ds_read_b64_tr_b8 a[128:129], v7 offset:7168               // 00000000CF30: DBC41C00 80000007
	ds_read_b64_tr_b8 a[130:131], v8 offset:7168               // 00000000CF38: DBC41C00 82000008
	ds_read_b64_tr_b8 a[132:133], v7 offset:25600              // 00000000CF40: DBC46400 84000007
	ds_read_b64_tr_b8 a[134:135], v8 offset:25600              // 00000000CF48: DBC46400 86000008
	s_waitcnt lgkmcnt(0)                                       // 00000000CF50: BF8CC07F
	v_mfma_f32_32x32x64_f8f6f4 v[192:207], a[72:79], v[32:39], v[192:207]// 00000000CF54: D3AE00C0 0F024148
	v_mfma_f32_32x32x64_f8f6f4 v[208:223], a[80:87], v[32:39], v[208:223]// 00000000CF5C: D3AE00D0 0F424150
	v_mfma_f32_32x32x64_f8f6f4 a[144:159], a[88:95], v[32:39], a[144:159]// 00000000CF64: D3AE8090 0E424158
	v_mfma_f32_32x32x64_f8f6f4 a[160:175], a[96:103], v[32:39], a[160:175]// 00000000CF6C: D3AE80A0 0E824160
	v_mfma_f32_32x32x64_f8f6f4 a[176:191], a[104:111], v[32:39], a[176:191]// 00000000CF74: D3AE80B0 0EC24168
	v_mfma_f32_32x32x64_f8f6f4 a[192:207], a[112:119], v[32:39], a[192:207]// 00000000CF7C: D3AE80C0 0F024170
	v_mfma_f32_32x32x64_f8f6f4 a[208:223], a[120:127], v[32:39], a[208:223]// 00000000CF84: D3AE80D0 0F424178
	v_mfma_f32_32x32x64_f8f6f4 a[224:239], a[128:135], v[32:39], a[224:239]// 00000000CF8C: D3AE80E0 0F824180
	s_nop 8                                                    // 00000000CF94: BF800008
	s_branch label_DE04                                        // 00000000CF98: BF820BD8

000000000000cf9c <label_AC9C>:
	s_waitcnt lgkmcnt(4)                                       // 00000000CF9C: BF8CC47F
	v_mfma_f32_32x32x64_f8f6f4 v[32:47], a[72:79], a[0:7], 0   // 00000000CFA0: D3AE0020 1A020148
	v_mfma_f32_32x32x64_f8f6f4 v[32:47], a[80:87], a[8:15], v[32:47]// 00000000CFA8: D3AE0020 1C821150
	v_mfma_f32_32x32x64_f8f6f4 v[32:47], a[88:95], a[16:23], v[32:47]// 00000000CFB0: D3AE0020 1C822158
	ds_read_b128 a[72:75], v20 offset:18432                    // 00000000CFB8: DBFE4800 48000014
	ds_read_b128 a[76:79], v21 offset:18432                    // 00000000CFC0: DBFE4800 4C000015
	v_mfma_f32_32x32x64_f8f6f4 v[32:47], a[96:103], a[24:31], v[32:47]// 00000000CFC8: D3AE0020 1C823160
	ds_read_b128 a[80:83], v20 offset:19456                    // 00000000CFD0: DBFE4C00 50000014
	ds_read_b128 a[84:87], v21 offset:19456                    // 00000000CFD8: DBFE4C00 54000015
	v_mfma_f32_32x32x64_f8f6f4 v[32:47], a[104:111], a[32:39], v[32:47]// 00000000CFE0: D3AE0020 1C824168
	ds_read_b128 a[88:91], v20 offset:20480                    // 00000000CFE8: DBFE5000 58000014
	ds_read_b128 a[92:95], v21 offset:20480                    // 00000000CFF0: DBFE5000 5C000015
	v_mfma_f32_32x32x64_f8f6f4 v[32:47], a[112:119], a[40:47], v[32:47]// 00000000CFF8: D3AE0020 1C825170
	ds_read_b128 a[96:99], v20 offset:21504                    // 00000000D000: DBFE5400 60000014
	ds_read_b128 a[100:103], v21 offset:21504                  // 00000000D008: DBFE5400 64000015
	v_mfma_f32_32x32x64_f8f6f4 v[32:47], a[120:127], a[48:55], v[32:47]// 00000000D010: D3AE0020 1C826178
	ds_read_b128 a[104:107], v20 offset:22528                  // 00000000D018: DBFE5800 68000014
	ds_read_b128 a[108:111], v21 offset:22528                  // 00000000D020: DBFE5800 6C000015
	v_mfma_f32_32x32x64_f8f6f4 v[32:47], a[128:135], a[56:63], v[32:47]// 00000000D028: D3AE0020 1C827180
	ds_read_b128 a[112:115], v20 offset:23552                  // 00000000D030: DBFE5C00 70000014
	ds_read_b128 a[116:119], v21 offset:23552                  // 00000000D038: DBFE5C00 74000015
	v_mfma_f32_32x32x64_f8f6f4 v[32:47], a[136:143], a[64:71], v[32:47]// 00000000D040: D3AE0020 1C828188
	ds_read_b128 a[120:123], v20 offset:24576                  // 00000000D048: DBFE6000 78000014
	ds_read_b128 a[124:127], v21 offset:24576                  // 00000000D050: DBFE6000 7C000015
	ds_read_b128 a[128:131], v20 offset:25600                  // 00000000D058: DBFE6400 80000014
	ds_read_b128 a[132:135], v21 offset:25600                  // 00000000D060: DBFE6400 84000015
	ds_read_b128 a[136:139], v20 offset:26624                  // 00000000D068: DBFE6800 88000014
	ds_read_b128 a[140:143], v21 offset:26624                  // 00000000D070: DBFE6800 8C000015
	s_waitcnt lgkmcnt(4)                                       // 00000000D078: BF8CC47F
	v_mfma_f32_32x32x64_f8f6f4 v[48:63], a[72:79], a[0:7], 0   // 00000000D07C: D3AE0030 1A020148
	v_mfma_f32_32x32x64_f8f6f4 v[48:63], a[80:87], a[8:15], v[48:63]// 00000000D084: D3AE0030 1CC21150
	v_mfma_f32_32x32x64_f8f6f4 v[48:63], a[88:95], a[16:23], v[48:63]// 00000000D08C: D3AE0030 1CC22158
	ds_read_b64_tr_b8 a[72:73], v9                             // 00000000D094: DBC40000 48000009
	ds_read_b64_tr_b8 a[74:75], v10                            // 00000000D09C: DBC40000 4A00000A
	ds_read_b64_tr_b8 a[76:77], v9 offset:18432                // 00000000D0A4: DBC44800 4C000009
	ds_read_b64_tr_b8 a[78:79], v10 offset:18432               // 00000000D0AC: DBC44800 4E00000A
	v_mfma_f32_32x32x64_f8f6f4 v[48:63], a[96:103], a[24:31], v[48:63]// 00000000D0B4: D3AE0030 1CC23160
	ds_read_b64_tr_b8 a[80:81], v11                            // 00000000D0BC: DBC40000 5000000B
	ds_read_b64_tr_b8 a[82:83], v12                            // 00000000D0C4: DBC40000 5200000C
	ds_read_b64_tr_b8 a[84:85], v11 offset:18432               // 00000000D0CC: DBC44800 5400000B
	ds_read_b64_tr_b8 a[86:87], v12 offset:18432               // 00000000D0D4: DBC44800 5600000C
	v_mfma_f32_32x32x64_f8f6f4 v[48:63], a[104:111], a[32:39], v[48:63]// 00000000D0DC: D3AE0030 1CC24168
	ds_read_b64_tr_b8 a[88:89], v9 offset:1024                 // 00000000D0E4: DBC40400 58000009
	ds_read_b64_tr_b8 a[90:91], v10 offset:1024                // 00000000D0EC: DBC40400 5A00000A
	ds_read_b64_tr_b8 a[92:93], v9 offset:19456                // 00000000D0F4: DBC44C00 5C000009
	ds_read_b64_tr_b8 a[94:95], v10 offset:19456               // 00000000D0FC: DBC44C00 5E00000A
	v_mfma_f32_32x32x64_f8f6f4 v[48:63], a[112:119], a[40:47], v[48:63]// 00000000D104: D3AE0030 1CC25170
	ds_read_b64_tr_b8 a[96:97], v11 offset:1024                // 00000000D10C: DBC40400 6000000B
	ds_read_b64_tr_b8 a[98:99], v12 offset:1024                // 00000000D114: DBC40400 6200000C
	ds_read_b64_tr_b8 a[100:101], v11 offset:19456             // 00000000D11C: DBC44C00 6400000B
	ds_read_b64_tr_b8 a[102:103], v12 offset:19456             // 00000000D124: DBC44C00 6600000C
	v_mfma_f32_32x32x64_f8f6f4 v[48:63], a[120:127], a[48:55], v[48:63]// 00000000D12C: D3AE0030 1CC26178
	ds_read_b64_tr_b8 a[104:105], v9 offset:2048               // 00000000D134: DBC40800 68000009
	ds_read_b64_tr_b8 a[106:107], v10 offset:2048              // 00000000D13C: DBC40800 6A00000A
	ds_read_b64_tr_b8 a[108:109], v9 offset:20480              // 00000000D144: DBC45000 6C000009
	ds_read_b64_tr_b8 a[110:111], v10 offset:20480             // 00000000D14C: DBC45000 6E00000A
	v_mfma_f32_32x32x64_f8f6f4 v[48:63], a[128:135], a[56:63], v[48:63]// 00000000D154: D3AE0030 1CC27180
	ds_read_b64_tr_b8 a[112:113], v11 offset:2048              // 00000000D15C: DBC40800 7000000B
	ds_read_b64_tr_b8 a[114:115], v12 offset:2048              // 00000000D164: DBC40800 7200000C
	ds_read_b64_tr_b8 a[116:117], v11 offset:20480             // 00000000D16C: DBC45000 7400000B
	ds_read_b64_tr_b8 a[118:119], v12 offset:20480             // 00000000D174: DBC45000 7600000C
	v_mfma_f32_32x32x64_f8f6f4 v[48:63], a[136:143], a[64:71], v[48:63]// 00000000D17C: D3AE0030 1CC28188
	ds_read_b64_tr_b8 a[120:121], v9 offset:3072               // 00000000D184: DBC40C00 78000009
	ds_read_b64_tr_b8 a[122:123], v10 offset:3072              // 00000000D18C: DBC40C00 7A00000A
	ds_read_b64_tr_b8 a[124:125], v9 offset:21504              // 00000000D194: DBC45400 7C000009
	ds_read_b64_tr_b8 a[126:127], v10 offset:21504             // 00000000D19C: DBC45400 7E00000A
	ds_read_b64_tr_b8 a[128:129], v11 offset:3072              // 00000000D1A4: DBC40C00 8000000B
	ds_read_b64_tr_b8 a[130:131], v12 offset:3072              // 00000000D1AC: DBC40C00 8200000C
	ds_read_b64_tr_b8 a[132:133], v11 offset:21504             // 00000000D1B4: DBC45400 8400000B
	ds_read_b64_tr_b8 a[134:135], v12 offset:21504             // 00000000D1BC: DBC45400 8600000C
	s_nop 8                                                    // 00000000D1C4: BF800008
	s_and_b32 s56, s48, 0xff                                   // 00000000D1C8: 8638FF30 000000FF
	v_mov_b32_e32 v29, s56                                     // 00000000D1D0: 7E3A0238
	v_lshrrev_b32_e32 v223, 5, v0                              // 00000000D1D4: 21BE0085
	v_mul_i32_i24_e32 v223, 4, v223                            // 00000000D1D8: 0DBFBE84
	v_add_u32_e32 v224, 1, v223                                // 00000000D1DC: 69C1BE81
	v_add_u32_e32 v225, 2, v223                                // 00000000D1E0: 69C3BE82
	v_add_u32_e32 v226, 3, v223                                // 00000000D1E4: 69C5BE83
	v_mov_b32_e32 v28, 0xff800000                              // 00000000D1E8: 7E3802FF FF800000
	v_cmp_lt_u32_e64 s[36:37], v223, v29                       // 00000000D1F0: D0C90024 00023BDF
	v_add_u32_e32 v223, 8, v223                                // 00000000D1F8: 69BFBE88
	s_nop 0                                                    // 00000000D1FC: BF800000
	v_cndmask_b32_e64 v32, v28, v32, s[36:37]                  // 00000000D200: D1000020 0092411C
	v_cmp_lt_u32_e64 s[36:37], v224, v29                       // 00000000D208: D0C90024 00023BE0
	v_add_u32_e32 v224, 8, v224                                // 00000000D210: 69C1C088
	s_nop 0                                                    // 00000000D214: BF800000
	v_cndmask_b32_e64 v33, v28, v33, s[36:37]                  // 00000000D218: D1000021 0092431C
	v_cmp_lt_u32_e64 s[36:37], v225, v29                       // 00000000D220: D0C90024 00023BE1
	v_add_u32_e32 v225, 8, v225                                // 00000000D228: 69C3C288
	s_nop 0                                                    // 00000000D22C: BF800000
	v_cndmask_b32_e64 v34, v28, v34, s[36:37]                  // 00000000D230: D1000022 0092451C
	v_cmp_lt_u32_e64 s[36:37], v226, v29                       // 00000000D238: D0C90024 00023BE2
	v_add_u32_e32 v226, 8, v226                                // 00000000D240: 69C5C488
	s_nop 0                                                    // 00000000D244: BF800000
	v_cndmask_b32_e64 v35, v28, v35, s[36:37]                  // 00000000D248: D1000023 0092471C
	v_cmp_lt_u32_e64 s[36:37], v223, v29                       // 00000000D250: D0C90024 00023BDF
	v_add_u32_e32 v223, 8, v223                                // 00000000D258: 69BFBE88
	s_nop 0                                                    // 00000000D25C: BF800000
	v_cndmask_b32_e64 v36, v28, v36, s[36:37]                  // 00000000D260: D1000024 0092491C
	v_cmp_lt_u32_e64 s[36:37], v224, v29                       // 00000000D268: D0C90024 00023BE0
	v_add_u32_e32 v224, 8, v224                                // 00000000D270: 69C1C088
	s_nop 0                                                    // 00000000D274: BF800000
	v_cndmask_b32_e64 v37, v28, v37, s[36:37]                  // 00000000D278: D1000025 00924B1C
	v_cmp_lt_u32_e64 s[36:37], v225, v29                       // 00000000D280: D0C90024 00023BE1
	v_add_u32_e32 v225, 8, v225                                // 00000000D288: 69C3C288
	s_nop 0                                                    // 00000000D28C: BF800000
	v_cndmask_b32_e64 v38, v28, v38, s[36:37]                  // 00000000D290: D1000026 00924D1C
	v_cmp_lt_u32_e64 s[36:37], v226, v29                       // 00000000D298: D0C90024 00023BE2
	v_add_u32_e32 v226, 8, v226                                // 00000000D2A0: 69C5C488
	s_nop 0                                                    // 00000000D2A4: BF800000
	v_cndmask_b32_e64 v39, v28, v39, s[36:37]                  // 00000000D2A8: D1000027 00924F1C
	v_cmp_lt_u32_e64 s[36:37], v223, v29                       // 00000000D2B0: D0C90024 00023BDF
	v_add_u32_e32 v223, 8, v223                                // 00000000D2B8: 69BFBE88
	s_nop 0                                                    // 00000000D2BC: BF800000
	v_cndmask_b32_e64 v40, v28, v40, s[36:37]                  // 00000000D2C0: D1000028 0092511C
	v_cmp_lt_u32_e64 s[36:37], v224, v29                       // 00000000D2C8: D0C90024 00023BE0
	v_add_u32_e32 v224, 8, v224                                // 00000000D2D0: 69C1C088
	s_nop 0                                                    // 00000000D2D4: BF800000
	v_cndmask_b32_e64 v41, v28, v41, s[36:37]                  // 00000000D2D8: D1000029 0092531C
	v_cmp_lt_u32_e64 s[36:37], v225, v29                       // 00000000D2E0: D0C90024 00023BE1
	v_add_u32_e32 v225, 8, v225                                // 00000000D2E8: 69C3C288
	s_nop 0                                                    // 00000000D2EC: BF800000
	v_cndmask_b32_e64 v42, v28, v42, s[36:37]                  // 00000000D2F0: D100002A 0092551C
	v_cmp_lt_u32_e64 s[36:37], v226, v29                       // 00000000D2F8: D0C90024 00023BE2
	v_add_u32_e32 v226, 8, v226                                // 00000000D300: 69C5C488
	s_nop 0                                                    // 00000000D304: BF800000
	v_cndmask_b32_e64 v43, v28, v43, s[36:37]                  // 00000000D308: D100002B 0092571C
	v_cmp_lt_u32_e64 s[36:37], v223, v29                       // 00000000D310: D0C90024 00023BDF
	v_add_u32_e32 v223, 8, v223                                // 00000000D318: 69BFBE88
	s_nop 0                                                    // 00000000D31C: BF800000
	v_cndmask_b32_e64 v44, v28, v44, s[36:37]                  // 00000000D320: D100002C 0092591C
	v_cmp_lt_u32_e64 s[36:37], v224, v29                       // 00000000D328: D0C90024 00023BE0
	v_add_u32_e32 v224, 8, v224                                // 00000000D330: 69C1C088
	s_nop 0                                                    // 00000000D334: BF800000
	v_cndmask_b32_e64 v45, v28, v45, s[36:37]                  // 00000000D338: D100002D 00925B1C
	v_cmp_lt_u32_e64 s[36:37], v225, v29                       // 00000000D340: D0C90024 00023BE1
	v_add_u32_e32 v225, 8, v225                                // 00000000D348: 69C3C288
	s_nop 0                                                    // 00000000D34C: BF800000
	v_cndmask_b32_e64 v46, v28, v46, s[36:37]                  // 00000000D350: D100002E 00925D1C
	v_cmp_lt_u32_e64 s[36:37], v226, v29                       // 00000000D358: D0C90024 00023BE2
	v_add_u32_e32 v226, 8, v226                                // 00000000D360: 69C5C488
	s_nop 0                                                    // 00000000D364: BF800000
	v_cndmask_b32_e64 v47, v28, v47, s[36:37]                  // 00000000D368: D100002F 00925F1C
	v_cmp_lt_u32_e64 s[36:37], v223, v29                       // 00000000D370: D0C90024 00023BDF
	v_add_u32_e32 v223, 8, v223                                // 00000000D378: 69BFBE88
	s_nop 0                                                    // 00000000D37C: BF800000
	v_cndmask_b32_e64 v48, v28, v48, s[36:37]                  // 00000000D380: D1000030 0092611C
	v_cmp_lt_u32_e64 s[36:37], v224, v29                       // 00000000D388: D0C90024 00023BE0
	v_add_u32_e32 v224, 8, v224                                // 00000000D390: 69C1C088
	s_nop 0                                                    // 00000000D394: BF800000
	v_cndmask_b32_e64 v49, v28, v49, s[36:37]                  // 00000000D398: D1000031 0092631C
	v_cmp_lt_u32_e64 s[36:37], v225, v29                       // 00000000D3A0: D0C90024 00023BE1
	v_add_u32_e32 v225, 8, v225                                // 00000000D3A8: 69C3C288
	s_nop 0                                                    // 00000000D3AC: BF800000
	v_cndmask_b32_e64 v50, v28, v50, s[36:37]                  // 00000000D3B0: D1000032 0092651C
	v_cmp_lt_u32_e64 s[36:37], v226, v29                       // 00000000D3B8: D0C90024 00023BE2
	v_add_u32_e32 v226, 8, v226                                // 00000000D3C0: 69C5C488
	s_nop 0                                                    // 00000000D3C4: BF800000
	v_cndmask_b32_e64 v51, v28, v51, s[36:37]                  // 00000000D3C8: D1000033 0092671C
	v_cmp_lt_u32_e64 s[36:37], v223, v29                       // 00000000D3D0: D0C90024 00023BDF
	v_add_u32_e32 v223, 8, v223                                // 00000000D3D8: 69BFBE88
	s_nop 0                                                    // 00000000D3DC: BF800000
	v_cndmask_b32_e64 v52, v28, v52, s[36:37]                  // 00000000D3E0: D1000034 0092691C
	v_cmp_lt_u32_e64 s[36:37], v224, v29                       // 00000000D3E8: D0C90024 00023BE0
	v_add_u32_e32 v224, 8, v224                                // 00000000D3F0: 69C1C088
	s_nop 0                                                    // 00000000D3F4: BF800000
	v_cndmask_b32_e64 v53, v28, v53, s[36:37]                  // 00000000D3F8: D1000035 00926B1C
	v_cmp_lt_u32_e64 s[36:37], v225, v29                       // 00000000D400: D0C90024 00023BE1
	v_add_u32_e32 v225, 8, v225                                // 00000000D408: 69C3C288
	s_nop 0                                                    // 00000000D40C: BF800000
	v_cndmask_b32_e64 v54, v28, v54, s[36:37]                  // 00000000D410: D1000036 00926D1C
	v_cmp_lt_u32_e64 s[36:37], v226, v29                       // 00000000D418: D0C90024 00023BE2
	v_add_u32_e32 v226, 8, v226                                // 00000000D420: 69C5C488
	s_nop 0                                                    // 00000000D424: BF800000
	v_cndmask_b32_e64 v55, v28, v55, s[36:37]                  // 00000000D428: D1000037 00926F1C
	v_cmp_lt_u32_e64 s[36:37], v223, v29                       // 00000000D430: D0C90024 00023BDF
	v_add_u32_e32 v223, 8, v223                                // 00000000D438: 69BFBE88
	s_nop 0                                                    // 00000000D43C: BF800000
	v_cndmask_b32_e64 v56, v28, v56, s[36:37]                  // 00000000D440: D1000038 0092711C
	v_cmp_lt_u32_e64 s[36:37], v224, v29                       // 00000000D448: D0C90024 00023BE0
	v_add_u32_e32 v224, 8, v224                                // 00000000D450: 69C1C088
	s_nop 0                                                    // 00000000D454: BF800000
	v_cndmask_b32_e64 v57, v28, v57, s[36:37]                  // 00000000D458: D1000039 0092731C
	v_cmp_lt_u32_e64 s[36:37], v225, v29                       // 00000000D460: D0C90024 00023BE1
	v_add_u32_e32 v225, 8, v225                                // 00000000D468: 69C3C288
	s_nop 0                                                    // 00000000D46C: BF800000
	v_cndmask_b32_e64 v58, v28, v58, s[36:37]                  // 00000000D470: D100003A 0092751C
	v_cmp_lt_u32_e64 s[36:37], v226, v29                       // 00000000D478: D0C90024 00023BE2
	v_add_u32_e32 v226, 8, v226                                // 00000000D480: 69C5C488
	s_nop 0                                                    // 00000000D484: BF800000
	v_cndmask_b32_e64 v59, v28, v59, s[36:37]                  // 00000000D488: D100003B 0092771C
	v_cmp_lt_u32_e64 s[36:37], v223, v29                       // 00000000D490: D0C90024 00023BDF
	v_add_u32_e32 v223, 8, v223                                // 00000000D498: 69BFBE88
	s_nop 0                                                    // 00000000D49C: BF800000
	v_cndmask_b32_e64 v60, v28, v60, s[36:37]                  // 00000000D4A0: D100003C 0092791C
	v_cmp_lt_u32_e64 s[36:37], v224, v29                       // 00000000D4A8: D0C90024 00023BE0
	v_add_u32_e32 v224, 8, v224                                // 00000000D4B0: 69C1C088
	s_nop 0                                                    // 00000000D4B4: BF800000
	v_cndmask_b32_e64 v61, v28, v61, s[36:37]                  // 00000000D4B8: D100003D 00927B1C
	v_cmp_lt_u32_e64 s[36:37], v225, v29                       // 00000000D4C0: D0C90024 00023BE1
	v_add_u32_e32 v225, 8, v225                                // 00000000D4C8: 69C3C288
	s_nop 0                                                    // 00000000D4CC: BF800000
	v_cndmask_b32_e64 v62, v28, v62, s[36:37]                  // 00000000D4D0: D100003E 00927D1C
	v_cmp_lt_u32_e64 s[36:37], v226, v29                       // 00000000D4D8: D0C90024 00023BE2
	v_add_u32_e32 v226, 8, v226                                // 00000000D4E0: 69C5C488
	s_nop 0                                                    // 00000000D4E4: BF800000
	v_cndmask_b32_e64 v63, v28, v63, s[36:37]                  // 00000000D4E8: D100003F 00927F1C
	s_cmp_le_i32 s83, s82                                      // 00000000D4F0: BF055253
	s_cbranch_scc1 label_B548                                  // 00000000D4F4: BF8500D4
	v_mov_b32_e32 v28, s82                                     // 00000000D4F8: 7E380252
	s_cmp_eq_i32 s81, 1                                        // 00000000D4FC: BF008151
	s_cbranch_scc1 label_B224                                  // 00000000D500: BF850008
	s_cmp_eq_i32 s81, 2                                        // 00000000D504: BF008251
	s_cbranch_scc1 label_B218                                  // 00000000D508: BF850003
	v_add_i32 v28, s7, v28                                     // 00000000D50C: D29C001C 00023807
	s_branch label_B224                                        // 00000000D514: BF820003

000000000000d518 <label_B218>:
	s_lshr_b32 s56, s7, 1                                      // 00000000D518: 8F388107
	v_add_u32_e32 v28, s56, v28                                // 00000000D51C: 68383838
	s_branch label_B224                                        // 00000000D520: BF820000

000000000000d524 <label_B224>:
	s_sub_u32 s56, s83, 63                                     // 00000000D524: 80B8BF53
	v_lshrrev_b32_e32 v223, 5, v0                              // 00000000D528: 21BE0085
	v_mul_i32_i24_e32 v223, 4, v223                            // 00000000D52C: 0DBFBE84
	v_add_u32_e32 v223, s56, v223                              // 00000000D530: 69BFBE38
	v_add_u32_e32 v224, 1, v223                                // 00000000D534: 69C1BE81
	v_add_u32_e32 v225, 2, v223                                // 00000000D538: 69C3BE82
	v_add_u32_e32 v226, 3, v223                                // 00000000D53C: 69C5BE83
	v_mov_b32_e32 v31, 0xff800000                              // 00000000D540: 7E3E02FF FF800000
	v_cmp_le_i32_e64 s[36:37], v223, v28                       // 00000000D548: D0C30024 000239DF
	s_nop 0                                                    // 00000000D550: BF800000
	v_cndmask_b32_e64 v32, v31, v32, s[36:37]                  // 00000000D554: D1000020 0092411F
	v_add_u32_e32 v223, 8, v223                                // 00000000D55C: 69BFBE88
	v_cmp_le_i32_e64 s[36:37], v224, v28                       // 00000000D560: D0C30024 000239E0
	s_nop 0                                                    // 00000000D568: BF800000
	v_cndmask_b32_e64 v33, v31, v33, s[36:37]                  // 00000000D56C: D1000021 0092431F
	v_add_u32_e32 v224, 8, v224                                // 00000000D574: 69C1C088
	v_cmp_le_i32_e64 s[36:37], v225, v28                       // 00000000D578: D0C30024 000239E1
	s_nop 0                                                    // 00000000D580: BF800000
	v_cndmask_b32_e64 v34, v31, v34, s[36:37]                  // 00000000D584: D1000022 0092451F
	v_add_u32_e32 v225, 8, v225                                // 00000000D58C: 69C3C288
	v_cmp_le_i32_e64 s[36:37], v226, v28                       // 00000000D590: D0C30024 000239E2
	s_nop 0                                                    // 00000000D598: BF800000
	v_cndmask_b32_e64 v35, v31, v35, s[36:37]                  // 00000000D59C: D1000023 0092471F
	v_add_u32_e32 v226, 8, v226                                // 00000000D5A4: 69C5C488
	v_cmp_le_i32_e64 s[36:37], v223, v28                       // 00000000D5A8: D0C30024 000239DF
	s_nop 0                                                    // 00000000D5B0: BF800000
	v_cndmask_b32_e64 v36, v31, v36, s[36:37]                  // 00000000D5B4: D1000024 0092491F
	v_add_u32_e32 v223, 8, v223                                // 00000000D5BC: 69BFBE88
	v_cmp_le_i32_e64 s[36:37], v224, v28                       // 00000000D5C0: D0C30024 000239E0
	s_nop 0                                                    // 00000000D5C8: BF800000
	v_cndmask_b32_e64 v37, v31, v37, s[36:37]                  // 00000000D5CC: D1000025 00924B1F
	v_add_u32_e32 v224, 8, v224                                // 00000000D5D4: 69C1C088
	v_cmp_le_i32_e64 s[36:37], v225, v28                       // 00000000D5D8: D0C30024 000239E1
	s_nop 0                                                    // 00000000D5E0: BF800000
	v_cndmask_b32_e64 v38, v31, v38, s[36:37]                  // 00000000D5E4: D1000026 00924D1F
	v_add_u32_e32 v225, 8, v225                                // 00000000D5EC: 69C3C288
	v_cmp_le_i32_e64 s[36:37], v226, v28                       // 00000000D5F0: D0C30024 000239E2
	s_nop 0                                                    // 00000000D5F8: BF800000
	v_cndmask_b32_e64 v39, v31, v39, s[36:37]                  // 00000000D5FC: D1000027 00924F1F
	v_add_u32_e32 v226, 8, v226                                // 00000000D604: 69C5C488
	v_cmp_le_i32_e64 s[36:37], v223, v28                       // 00000000D608: D0C30024 000239DF
	s_nop 0                                                    // 00000000D610: BF800000
	v_cndmask_b32_e64 v40, v31, v40, s[36:37]                  // 00000000D614: D1000028 0092511F
	v_add_u32_e32 v223, 8, v223                                // 00000000D61C: 69BFBE88
	v_cmp_le_i32_e64 s[36:37], v224, v28                       // 00000000D620: D0C30024 000239E0
	s_nop 0                                                    // 00000000D628: BF800000
	v_cndmask_b32_e64 v41, v31, v41, s[36:37]                  // 00000000D62C: D1000029 0092531F
	v_add_u32_e32 v224, 8, v224                                // 00000000D634: 69C1C088
	v_cmp_le_i32_e64 s[36:37], v225, v28                       // 00000000D638: D0C30024 000239E1
	s_nop 0                                                    // 00000000D640: BF800000
	v_cndmask_b32_e64 v42, v31, v42, s[36:37]                  // 00000000D644: D100002A 0092551F
	v_add_u32_e32 v225, 8, v225                                // 00000000D64C: 69C3C288
	v_cmp_le_i32_e64 s[36:37], v226, v28                       // 00000000D650: D0C30024 000239E2
	s_nop 0                                                    // 00000000D658: BF800000
	v_cndmask_b32_e64 v43, v31, v43, s[36:37]                  // 00000000D65C: D100002B 0092571F
	v_add_u32_e32 v226, 8, v226                                // 00000000D664: 69C5C488
	v_cmp_le_i32_e64 s[36:37], v223, v28                       // 00000000D668: D0C30024 000239DF
	s_nop 0                                                    // 00000000D670: BF800000
	v_cndmask_b32_e64 v44, v31, v44, s[36:37]                  // 00000000D674: D100002C 0092591F
	v_add_u32_e32 v223, 8, v223                                // 00000000D67C: 69BFBE88
	v_cmp_le_i32_e64 s[36:37], v224, v28                       // 00000000D680: D0C30024 000239E0
	s_nop 0                                                    // 00000000D688: BF800000
	v_cndmask_b32_e64 v45, v31, v45, s[36:37]                  // 00000000D68C: D100002D 00925B1F
	v_add_u32_e32 v224, 8, v224                                // 00000000D694: 69C1C088
	v_cmp_le_i32_e64 s[36:37], v225, v28                       // 00000000D698: D0C30024 000239E1
	s_nop 0                                                    // 00000000D6A0: BF800000
	v_cndmask_b32_e64 v46, v31, v46, s[36:37]                  // 00000000D6A4: D100002E 00925D1F
	v_add_u32_e32 v225, 8, v225                                // 00000000D6AC: 69C3C288
	v_cmp_le_i32_e64 s[36:37], v226, v28                       // 00000000D6B0: D0C30024 000239E2
	s_nop 0                                                    // 00000000D6B8: BF800000
	v_cndmask_b32_e64 v47, v31, v47, s[36:37]                  // 00000000D6BC: D100002F 00925F1F
	v_add_u32_e32 v226, 8, v226                                // 00000000D6C4: 69C5C488
	v_cmp_le_i32_e64 s[36:37], v223, v28                       // 00000000D6C8: D0C30024 000239DF
	s_nop 0                                                    // 00000000D6D0: BF800000
	v_cndmask_b32_e64 v48, v31, v48, s[36:37]                  // 00000000D6D4: D1000030 0092611F
	v_add_u32_e32 v223, 8, v223                                // 00000000D6DC: 69BFBE88
	v_cmp_le_i32_e64 s[36:37], v224, v28                       // 00000000D6E0: D0C30024 000239E0
	s_nop 0                                                    // 00000000D6E8: BF800000
	v_cndmask_b32_e64 v49, v31, v49, s[36:37]                  // 00000000D6EC: D1000031 0092631F
	v_add_u32_e32 v224, 8, v224                                // 00000000D6F4: 69C1C088
	v_cmp_le_i32_e64 s[36:37], v225, v28                       // 00000000D6F8: D0C30024 000239E1
	s_nop 0                                                    // 00000000D700: BF800000
	v_cndmask_b32_e64 v50, v31, v50, s[36:37]                  // 00000000D704: D1000032 0092651F
	v_add_u32_e32 v225, 8, v225                                // 00000000D70C: 69C3C288
	v_cmp_le_i32_e64 s[36:37], v226, v28                       // 00000000D710: D0C30024 000239E2
	s_nop 0                                                    // 00000000D718: BF800000
	v_cndmask_b32_e64 v51, v31, v51, s[36:37]                  // 00000000D71C: D1000033 0092671F
	v_add_u32_e32 v226, 8, v226                                // 00000000D724: 69C5C488
	v_cmp_le_i32_e64 s[36:37], v223, v28                       // 00000000D728: D0C30024 000239DF
	s_nop 0                                                    // 00000000D730: BF800000
	v_cndmask_b32_e64 v52, v31, v52, s[36:37]                  // 00000000D734: D1000034 0092691F
	v_add_u32_e32 v223, 8, v223                                // 00000000D73C: 69BFBE88
	v_cmp_le_i32_e64 s[36:37], v224, v28                       // 00000000D740: D0C30024 000239E0
	s_nop 0                                                    // 00000000D748: BF800000
	v_cndmask_b32_e64 v53, v31, v53, s[36:37]                  // 00000000D74C: D1000035 00926B1F
	v_add_u32_e32 v224, 8, v224                                // 00000000D754: 69C1C088
	v_cmp_le_i32_e64 s[36:37], v225, v28                       // 00000000D758: D0C30024 000239E1
	s_nop 0                                                    // 00000000D760: BF800000
	v_cndmask_b32_e64 v54, v31, v54, s[36:37]                  // 00000000D764: D1000036 00926D1F
	v_add_u32_e32 v225, 8, v225                                // 00000000D76C: 69C3C288
	v_cmp_le_i32_e64 s[36:37], v226, v28                       // 00000000D770: D0C30024 000239E2
	s_nop 0                                                    // 00000000D778: BF800000
	v_cndmask_b32_e64 v55, v31, v55, s[36:37]                  // 00000000D77C: D1000037 00926F1F
	v_add_u32_e32 v226, 8, v226                                // 00000000D784: 69C5C488
	v_cmp_le_i32_e64 s[36:37], v223, v28                       // 00000000D788: D0C30024 000239DF
	s_nop 0                                                    // 00000000D790: BF800000
	v_cndmask_b32_e64 v56, v31, v56, s[36:37]                  // 00000000D794: D1000038 0092711F
	v_add_u32_e32 v223, 8, v223                                // 00000000D79C: 69BFBE88
	v_cmp_le_i32_e64 s[36:37], v224, v28                       // 00000000D7A0: D0C30024 000239E0
	s_nop 0                                                    // 00000000D7A8: BF800000
	v_cndmask_b32_e64 v57, v31, v57, s[36:37]                  // 00000000D7AC: D1000039 0092731F
	v_add_u32_e32 v224, 8, v224                                // 00000000D7B4: 69C1C088
	v_cmp_le_i32_e64 s[36:37], v225, v28                       // 00000000D7B8: D0C30024 000239E1
	s_nop 0                                                    // 00000000D7C0: BF800000
	v_cndmask_b32_e64 v58, v31, v58, s[36:37]                  // 00000000D7C4: D100003A 0092751F
	v_add_u32_e32 v225, 8, v225                                // 00000000D7CC: 69C3C288
	v_cmp_le_i32_e64 s[36:37], v226, v28                       // 00000000D7D0: D0C30024 000239E2
	s_nop 0                                                    // 00000000D7D8: BF800000
	v_cndmask_b32_e64 v59, v31, v59, s[36:37]                  // 00000000D7DC: D100003B 0092771F
	v_add_u32_e32 v226, 8, v226                                // 00000000D7E4: 69C5C488
	v_cmp_le_i32_e64 s[36:37], v223, v28                       // 00000000D7E8: D0C30024 000239DF
	s_nop 0                                                    // 00000000D7F0: BF800000
	v_cndmask_b32_e64 v60, v31, v60, s[36:37]                  // 00000000D7F4: D100003C 0092791F
	v_add_u32_e32 v223, 8, v223                                // 00000000D7FC: 69BFBE88
	v_cmp_le_i32_e64 s[36:37], v224, v28                       // 00000000D800: D0C30024 000239E0
	s_nop 0                                                    // 00000000D808: BF800000
	v_cndmask_b32_e64 v61, v31, v61, s[36:37]                  // 00000000D80C: D100003D 00927B1F
	v_add_u32_e32 v224, 8, v224                                // 00000000D814: 69C1C088
	v_cmp_le_i32_e64 s[36:37], v225, v28                       // 00000000D818: D0C30024 000239E1
	s_nop 0                                                    // 00000000D820: BF800000
	v_cndmask_b32_e64 v62, v31, v62, s[36:37]                  // 00000000D824: D100003E 00927D1F
	v_add_u32_e32 v225, 8, v225                                // 00000000D82C: 69C3C288
	v_cmp_le_i32_e64 s[36:37], v226, v28                       // 00000000D830: D0C30024 000239E2
	s_nop 0                                                    // 00000000D838: BF800000
	v_cndmask_b32_e64 v63, v31, v63, s[36:37]                  // 00000000D83C: D100003F 00927F1F
	v_add_u32_e32 v226, 8, v226                                // 00000000D844: 69C5C488

000000000000d848 <label_B548>:
	s_add_u32 s83, s84, s83                                    // 00000000D848: 80535354
	s_nop 2                                                    // 00000000D84C: BF800002
	v_mov_b32_e32 v29, v32                                     // 00000000D850: 7E3A0320
	v_max3_f32 v29, v32, v33, v29                              // 00000000D854: D1D3001D 04764320
	v_max3_f32 v29, v34, v35, v29                              // 00000000D85C: D1D3001D 04764722
	v_max3_f32 v29, v36, v37, v29                              // 00000000D864: D1D3001D 04764B24
	v_max3_f32 v29, v38, v39, v29                              // 00000000D86C: D1D3001D 04764F26
	v_max3_f32 v29, v40, v41, v29                              // 00000000D874: D1D3001D 04765328
	v_max3_f32 v29, v42, v43, v29                              // 00000000D87C: D1D3001D 0476572A
	v_max3_f32 v29, v44, v45, v29                              // 00000000D884: D1D3001D 04765B2C
	v_max3_f32 v29, v46, v47, v29                              // 00000000D88C: D1D3001D 04765F2E
	v_max3_f32 v29, v48, v49, v29                              // 00000000D894: D1D3001D 04766330
	v_max3_f32 v29, v50, v51, v29                              // 00000000D89C: D1D3001D 04766732
	v_max3_f32 v29, v52, v53, v29                              // 00000000D8A4: D1D3001D 04766B34
	v_max3_f32 v29, v54, v55, v29                              // 00000000D8AC: D1D3001D 04766F36
	v_max3_f32 v29, v56, v57, v29                              // 00000000D8B4: D1D3001D 04767338
	v_max3_f32 v29, v58, v59, v29                              // 00000000D8BC: D1D3001D 0476773A
	v_max3_f32 v29, v60, v61, v29                              // 00000000D8C4: D1D3001D 04767B3C
	v_max3_f32 v29, v62, v63, v29                              // 00000000D8CC: D1D3001D 04767F3E
	v_mov_b32_e32 v28, v29                                     // 00000000D8D4: 7E38031D
	v_mov_b32_e32 v29, v29                                     // 00000000D8D8: 7E3A031D
	s_nop 1                                                    // 00000000D8DC: BF800001
	v_permlane32_swap_b32_e32 v28, v29                         // 00000000D8E0: 7E38B51D
	v_max3_f32 v29, v28, v29, v29                              // 00000000D8E4: D1D3001D 04763B1C
	v_mov_b32_e32 v28, 0xff800000                              // 00000000D8EC: 7E3802FF FF800000
	v_cmp_eq_u32_e64 s[36:37], v28, v2                         // 00000000D8F4: D0CA0024 0002051C
	v_max_f32_e32 v29, v29, v2                                 // 00000000D8FC: 163A051D
	v_sub_f32_e32 v17, v2, v29                                 // 00000000D900: 04223B02
	v_cndmask_b32_e64 v17, v17, 0, s[36:37]                    // 00000000D904: D1000011 00910111
	v_mov_b32_e32 v2, v29                                      // 00000000D90C: 7E04031D
	v_mul_f32_e32 v29, s5, v29                                 // 00000000D910: 0A3A3A05
	v_mul_f32_e32 v17, s5, v17                                 // 00000000D914: 0A222205
	v_exp_f32_e32 v17, v17                                     // 00000000D918: 7E224111
	v_fma_f32 v32, v32, s5, -v29                               // 00000000D91C: D1CB0020 84740B20
	v_fma_f32 v33, v33, s5, -v29                               // 00000000D924: D1CB0021 84740B21
	v_fma_f32 v34, v34, s5, -v29                               // 00000000D92C: D1CB0022 84740B22
	v_fma_f32 v35, v35, s5, -v29                               // 00000000D934: D1CB0023 84740B23
	v_fma_f32 v36, v36, s5, -v29                               // 00000000D93C: D1CB0024 84740B24
	v_fma_f32 v37, v37, s5, -v29                               // 00000000D944: D1CB0025 84740B25
	v_fma_f32 v38, v38, s5, -v29                               // 00000000D94C: D1CB0026 84740B26
	v_fma_f32 v39, v39, s5, -v29                               // 00000000D954: D1CB0027 84740B27
	v_fma_f32 v40, v40, s5, -v29                               // 00000000D95C: D1CB0028 84740B28
	v_fma_f32 v41, v41, s5, -v29                               // 00000000D964: D1CB0029 84740B29
	v_fma_f32 v42, v42, s5, -v29                               // 00000000D96C: D1CB002A 84740B2A
	v_fma_f32 v43, v43, s5, -v29                               // 00000000D974: D1CB002B 84740B2B
	v_fma_f32 v44, v44, s5, -v29                               // 00000000D97C: D1CB002C 84740B2C
	v_fma_f32 v45, v45, s5, -v29                               // 00000000D984: D1CB002D 84740B2D
	v_fma_f32 v46, v46, s5, -v29                               // 00000000D98C: D1CB002E 84740B2E
	v_fma_f32 v47, v47, s5, -v29                               // 00000000D994: D1CB002F 84740B2F
	v_fma_f32 v48, v48, s5, -v29                               // 00000000D99C: D1CB0030 84740B30
	v_fma_f32 v49, v49, s5, -v29                               // 00000000D9A4: D1CB0031 84740B31
	v_fma_f32 v50, v50, s5, -v29                               // 00000000D9AC: D1CB0032 84740B32
	v_fma_f32 v51, v51, s5, -v29                               // 00000000D9B4: D1CB0033 84740B33
	v_fma_f32 v52, v52, s5, -v29                               // 00000000D9BC: D1CB0034 84740B34
	v_fma_f32 v53, v53, s5, -v29                               // 00000000D9C4: D1CB0035 84740B35
	v_fma_f32 v54, v54, s5, -v29                               // 00000000D9CC: D1CB0036 84740B36
	v_fma_f32 v55, v55, s5, -v29                               // 00000000D9D4: D1CB0037 84740B37
	v_fma_f32 v56, v56, s5, -v29                               // 00000000D9DC: D1CB0038 84740B38
	v_fma_f32 v57, v57, s5, -v29                               // 00000000D9E4: D1CB0039 84740B39
	v_fma_f32 v58, v58, s5, -v29                               // 00000000D9EC: D1CB003A 84740B3A
	v_fma_f32 v59, v59, s5, -v29                               // 00000000D9F4: D1CB003B 84740B3B
	v_fma_f32 v60, v60, s5, -v29                               // 00000000D9FC: D1CB003C 84740B3C
	v_fma_f32 v61, v61, s5, -v29                               // 00000000DA04: D1CB003D 84740B3D
	v_fma_f32 v62, v62, s5, -v29                               // 00000000DA0C: D1CB003E 84740B3E
	v_fma_f32 v63, v63, s5, -v29                               // 00000000DA14: D1CB003F 84740B3F
	v_exp_f32_e32 v32, v32                                     // 00000000DA1C: 7E404120
	v_exp_f32_e32 v33, v33                                     // 00000000DA20: 7E424121
	v_exp_f32_e32 v34, v34                                     // 00000000DA24: 7E444122
	v_exp_f32_e32 v35, v35                                     // 00000000DA28: 7E464123
	v_exp_f32_e32 v36, v36                                     // 00000000DA2C: 7E484124
	v_exp_f32_e32 v37, v37                                     // 00000000DA30: 7E4A4125
	v_exp_f32_e32 v38, v38                                     // 00000000DA34: 7E4C4126
	v_exp_f32_e32 v39, v39                                     // 00000000DA38: 7E4E4127
	v_exp_f32_e32 v40, v40                                     // 00000000DA3C: 7E504128
	v_exp_f32_e32 v41, v41                                     // 00000000DA40: 7E524129
	v_exp_f32_e32 v42, v42                                     // 00000000DA44: 7E54412A
	v_exp_f32_e32 v43, v43                                     // 00000000DA48: 7E56412B
	v_exp_f32_e32 v44, v44                                     // 00000000DA4C: 7E58412C
	v_exp_f32_e32 v45, v45                                     // 00000000DA50: 7E5A412D
	v_exp_f32_e32 v46, v46                                     // 00000000DA54: 7E5C412E
	v_exp_f32_e32 v47, v47                                     // 00000000DA58: 7E5E412F
	v_exp_f32_e32 v48, v48                                     // 00000000DA5C: 7E604130
	v_exp_f32_e32 v49, v49                                     // 00000000DA60: 7E624131
	v_exp_f32_e32 v50, v50                                     // 00000000DA64: 7E644132
	v_exp_f32_e32 v51, v51                                     // 00000000DA68: 7E664133
	v_exp_f32_e32 v52, v52                                     // 00000000DA6C: 7E684134
	v_exp_f32_e32 v53, v53                                     // 00000000DA70: 7E6A4135
	v_exp_f32_e32 v54, v54                                     // 00000000DA74: 7E6C4136
	v_exp_f32_e32 v55, v55                                     // 00000000DA78: 7E6E4137
	v_exp_f32_e32 v56, v56                                     // 00000000DA7C: 7E704138
	v_exp_f32_e32 v57, v57                                     // 00000000DA80: 7E724139
	v_exp_f32_e32 v58, v58                                     // 00000000DA84: 7E74413A
	v_exp_f32_e32 v59, v59                                     // 00000000DA88: 7E76413B
	v_exp_f32_e32 v60, v60                                     // 00000000DA8C: 7E78413C
	v_exp_f32_e32 v61, v61                                     // 00000000DA90: 7E7A413D
	v_exp_f32_e32 v62, v62                                     // 00000000DA94: 7E7C413E
	v_exp_f32_e32 v63, v63                                     // 00000000DA98: 7E7E413F
	v_mul_f32_e32 v4, v17, v4                                  // 00000000DA9C: 0A080911
	v_mov_b32_e32 v28, v32                                     // 00000000DAA0: 7E380320
	v_add_f32_e32 v28, v33, v28                                // 00000000DAA4: 02383921
	v_add_f32_e32 v28, v34, v28                                // 00000000DAA8: 02383922
	v_add_f32_e32 v28, v35, v28                                // 00000000DAAC: 02383923
	v_add_f32_e32 v28, v36, v28                                // 00000000DAB0: 02383924
	v_add_f32_e32 v28, v37, v28                                // 00000000DAB4: 02383925
	v_add_f32_e32 v28, v38, v28                                // 00000000DAB8: 02383926
	v_add_f32_e32 v28, v39, v28                                // 00000000DABC: 02383927
	v_add_f32_e32 v28, v40, v28                                // 00000000DAC0: 02383928
	v_add_f32_e32 v28, v41, v28                                // 00000000DAC4: 02383929
	v_add_f32_e32 v28, v42, v28                                // 00000000DAC8: 0238392A
	v_add_f32_e32 v28, v43, v28                                // 00000000DACC: 0238392B
	v_add_f32_e32 v28, v44, v28                                // 00000000DAD0: 0238392C
	v_add_f32_e32 v28, v45, v28                                // 00000000DAD4: 0238392D
	v_add_f32_e32 v28, v46, v28                                // 00000000DAD8: 0238392E
	v_add_f32_e32 v28, v47, v28                                // 00000000DADC: 0238392F
	v_add_f32_e32 v28, v48, v28                                // 00000000DAE0: 02383930
	v_add_f32_e32 v28, v49, v28                                // 00000000DAE4: 02383931
	v_add_f32_e32 v28, v50, v28                                // 00000000DAE8: 02383932
	v_add_f32_e32 v28, v51, v28                                // 00000000DAEC: 02383933
	v_add_f32_e32 v28, v52, v28                                // 00000000DAF0: 02383934
	v_add_f32_e32 v28, v53, v28                                // 00000000DAF4: 02383935
	v_add_f32_e32 v28, v54, v28                                // 00000000DAF8: 02383936
	v_add_f32_e32 v28, v55, v28                                // 00000000DAFC: 02383937
	v_add_f32_e32 v28, v56, v28                                // 00000000DB00: 02383938
	v_add_f32_e32 v28, v57, v28                                // 00000000DB04: 02383939
	v_add_f32_e32 v28, v58, v28                                // 00000000DB08: 0238393A
	v_add_f32_e32 v28, v59, v28                                // 00000000DB0C: 0238393B
	v_add_f32_e32 v28, v60, v28                                // 00000000DB10: 0238393C
	v_add_f32_e32 v28, v61, v28                                // 00000000DB14: 0238393D
	v_add_f32_e32 v28, v62, v28                                // 00000000DB18: 0238393E
	v_add_f32_e32 v28, v63, v28                                // 00000000DB1C: 0238393F
	v_add_f32_e32 v4, v28, v4                                  // 00000000DB20: 0208091C
	v_cvt_pk_fp8_f32 v32, v32, v33                             // 00000000DB24: D2A20020 00024320
	v_cvt_pk_fp8_f32 v32, v34, v35 op_sel:[0,0,1]              // 00000000DB2C: D2A24020 00024722
	v_cvt_pk_fp8_f32 v33, v36, v37                             // 00000000DB34: D2A20021 00024B24
	v_cvt_pk_fp8_f32 v33, v38, v39 op_sel:[0,0,1]              // 00000000DB3C: D2A24021 00024F26
	v_cvt_pk_fp8_f32 v34, v40, v41                             // 00000000DB44: D2A20022 00025328
	v_cvt_pk_fp8_f32 v34, v42, v43 op_sel:[0,0,1]              // 00000000DB4C: D2A24022 0002572A
	v_cvt_pk_fp8_f32 v35, v44, v45                             // 00000000DB54: D2A20023 00025B2C
	v_cvt_pk_fp8_f32 v35, v46, v47 op_sel:[0,0,1]              // 00000000DB5C: D2A24023 00025F2E
	v_cvt_pk_fp8_f32 v36, v48, v49                             // 00000000DB64: D2A20024 00026330
	v_cvt_pk_fp8_f32 v36, v50, v51 op_sel:[0,0,1]              // 00000000DB6C: D2A24024 00026732
	v_cvt_pk_fp8_f32 v37, v52, v53                             // 00000000DB74: D2A20025 00026B34
	v_cvt_pk_fp8_f32 v37, v54, v55 op_sel:[0,0,1]              // 00000000DB7C: D2A24025 00026F36
	v_cvt_pk_fp8_f32 v38, v56, v57                             // 00000000DB84: D2A20026 00027338
	v_cvt_pk_fp8_f32 v38, v58, v59 op_sel:[0,0,1]              // 00000000DB8C: D2A24026 0002773A
	v_cvt_pk_fp8_f32 v39, v60, v61                             // 00000000DB94: D2A20027 00027B3C
	v_cvt_pk_fp8_f32 v39, v62, v63 op_sel:[0,0,1]              // 00000000DB9C: D2A24027 00027F3E
	v_permlane32_swap_b32_e32 v32, v34                         // 00000000DBA4: 7E40B522
	v_permlane32_swap_b32_e32 v33, v35                         // 00000000DBA8: 7E42B523
	v_swap_b32 v33, v34                                        // 00000000DBAC: 7E42A322
	v_permlane32_swap_b32_e32 v36, v38                         // 00000000DBB0: 7E48B526
	v_permlane32_swap_b32_e32 v37, v39                         // 00000000DBB4: 7E4AB527
	v_swap_b32 v37, v38                                        // 00000000DBB8: 7E4AA326
	v_mov_b32_e32 v28, v17                                     // 00000000DBBC: 7E380311
	v_mul_f32_e32 v64, v28, v64                                // 00000000DBC0: 0A80811C
	v_mul_f32_e32 v65, v28, v65                                // 00000000DBC4: 0A82831C
	v_mul_f32_e32 v66, v28, v66                                // 00000000DBC8: 0A84851C
	v_mul_f32_e32 v67, v28, v67                                // 00000000DBCC: 0A86871C
	v_mul_f32_e32 v68, v28, v68                                // 00000000DBD0: 0A88891C
	v_mul_f32_e32 v69, v28, v69                                // 00000000DBD4: 0A8A8B1C
	v_mul_f32_e32 v70, v28, v70                                // 00000000DBD8: 0A8C8D1C
	v_mul_f32_e32 v71, v28, v71                                // 00000000DBDC: 0A8E8F1C
	v_mul_f32_e32 v72, v28, v72                                // 00000000DBE0: 0A90911C
	v_mul_f32_e32 v73, v28, v73                                // 00000000DBE4: 0A92931C
	v_mul_f32_e32 v74, v28, v74                                // 00000000DBE8: 0A94951C
	v_mul_f32_e32 v75, v28, v75                                // 00000000DBEC: 0A96971C
	v_mul_f32_e32 v76, v28, v76                                // 00000000DBF0: 0A98991C
	v_mul_f32_e32 v77, v28, v77                                // 00000000DBF4: 0A9A9B1C
	v_mul_f32_e32 v78, v28, v78                                // 00000000DBF8: 0A9C9D1C
	v_mul_f32_e32 v79, v28, v79                                // 00000000DBFC: 0A9E9F1C
	v_mul_f32_e32 v80, v28, v80                                // 00000000DC00: 0AA0A11C
	v_mul_f32_e32 v81, v28, v81                                // 00000000DC04: 0AA2A31C
	v_mul_f32_e32 v82, v28, v82                                // 00000000DC08: 0AA4A51C
	v_mul_f32_e32 v83, v28, v83                                // 00000000DC0C: 0AA6A71C
	v_mul_f32_e32 v84, v28, v84                                // 00000000DC10: 0AA8A91C
	v_mul_f32_e32 v85, v28, v85                                // 00000000DC14: 0AAAAB1C
	v_mul_f32_e32 v86, v28, v86                                // 00000000DC18: 0AACAD1C
	v_mul_f32_e32 v87, v28, v87                                // 00000000DC1C: 0AAEAF1C
	v_mul_f32_e32 v88, v28, v88                                // 00000000DC20: 0AB0B11C
	v_mul_f32_e32 v89, v28, v89                                // 00000000DC24: 0AB2B31C
	v_mul_f32_e32 v90, v28, v90                                // 00000000DC28: 0AB4B51C
	v_mul_f32_e32 v91, v28, v91                                // 00000000DC2C: 0AB6B71C
	v_mul_f32_e32 v92, v28, v92                                // 00000000DC30: 0AB8B91C
	v_mul_f32_e32 v93, v28, v93                                // 00000000DC34: 0ABABB1C
	v_mul_f32_e32 v94, v28, v94                                // 00000000DC38: 0ABCBD1C
	v_mul_f32_e32 v95, v28, v95                                // 00000000DC3C: 0ABEBF1C
	v_mul_f32_e32 v96, v28, v96                                // 00000000DC40: 0AC0C11C
	v_mul_f32_e32 v97, v28, v97                                // 00000000DC44: 0AC2C31C
	v_mul_f32_e32 v98, v28, v98                                // 00000000DC48: 0AC4C51C
	v_mul_f32_e32 v99, v28, v99                                // 00000000DC4C: 0AC6C71C
	v_mul_f32_e32 v100, v28, v100                              // 00000000DC50: 0AC8C91C
	v_mul_f32_e32 v101, v28, v101                              // 00000000DC54: 0ACACB1C
	v_mul_f32_e32 v102, v28, v102                              // 00000000DC58: 0ACCCD1C
	v_mul_f32_e32 v103, v28, v103                              // 00000000DC5C: 0ACECF1C
	v_mul_f32_e32 v104, v28, v104                              // 00000000DC60: 0AD0D11C
	v_mul_f32_e32 v105, v28, v105                              // 00000000DC64: 0AD2D31C
	v_mul_f32_e32 v106, v28, v106                              // 00000000DC68: 0AD4D51C
	v_mul_f32_e32 v107, v28, v107                              // 00000000DC6C: 0AD6D71C
	v_mul_f32_e32 v108, v28, v108                              // 00000000DC70: 0AD8D91C
	v_mul_f32_e32 v109, v28, v109                              // 00000000DC74: 0ADADB1C
	v_mul_f32_e32 v110, v28, v110                              // 00000000DC78: 0ADCDD1C
	v_mul_f32_e32 v111, v28, v111                              // 00000000DC7C: 0ADEDF1C
	v_mul_f32_e32 v112, v28, v112                              // 00000000DC80: 0AE0E11C
	v_mul_f32_e32 v113, v28, v113                              // 00000000DC84: 0AE2E31C
	v_mul_f32_e32 v114, v28, v114                              // 00000000DC88: 0AE4E51C
	v_mul_f32_e32 v115, v28, v115                              // 00000000DC8C: 0AE6E71C
	v_mul_f32_e32 v116, v28, v116                              // 00000000DC90: 0AE8E91C
	v_mul_f32_e32 v117, v28, v117                              // 00000000DC94: 0AEAEB1C
	v_mul_f32_e32 v118, v28, v118                              // 00000000DC98: 0AECED1C
	v_mul_f32_e32 v119, v28, v119                              // 00000000DC9C: 0AEEEF1C
	v_mul_f32_e32 v120, v28, v120                              // 00000000DCA0: 0AF0F11C
	v_mul_f32_e32 v121, v28, v121                              // 00000000DCA4: 0AF2F31C
	v_mul_f32_e32 v122, v28, v122                              // 00000000DCA8: 0AF4F51C
	v_mul_f32_e32 v123, v28, v123                              // 00000000DCAC: 0AF6F71C
	v_mul_f32_e32 v124, v28, v124                              // 00000000DCB0: 0AF8F91C
	v_mul_f32_e32 v125, v28, v125                              // 00000000DCB4: 0AFAFB1C
	v_mul_f32_e32 v126, v28, v126                              // 00000000DCB8: 0AFCFD1C
	v_mul_f32_e32 v127, v28, v127                              // 00000000DCBC: 0AFEFF1C
	v_mul_f32_e32 v128, v28, v128                              // 00000000DCC0: 0B01011C
	v_mul_f32_e32 v129, v28, v129                              // 00000000DCC4: 0B03031C
	v_mul_f32_e32 v130, v28, v130                              // 00000000DCC8: 0B05051C
	v_mul_f32_e32 v131, v28, v131                              // 00000000DCCC: 0B07071C
	v_mul_f32_e32 v132, v28, v132                              // 00000000DCD0: 0B09091C
	v_mul_f32_e32 v133, v28, v133                              // 00000000DCD4: 0B0B0B1C
	v_mul_f32_e32 v134, v28, v134                              // 00000000DCD8: 0B0D0D1C
	v_mul_f32_e32 v135, v28, v135                              // 00000000DCDC: 0B0F0F1C
	v_mul_f32_e32 v136, v28, v136                              // 00000000DCE0: 0B11111C
	v_mul_f32_e32 v137, v28, v137                              // 00000000DCE4: 0B13131C
	v_mul_f32_e32 v138, v28, v138                              // 00000000DCE8: 0B15151C
	v_mul_f32_e32 v139, v28, v139                              // 00000000DCEC: 0B17171C
	v_mul_f32_e32 v140, v28, v140                              // 00000000DCF0: 0B19191C
	v_mul_f32_e32 v141, v28, v141                              // 00000000DCF4: 0B1B1B1C
	v_mul_f32_e32 v142, v28, v142                              // 00000000DCF8: 0B1D1D1C
	v_mul_f32_e32 v143, v28, v143                              // 00000000DCFC: 0B1F1F1C
	v_mul_f32_e32 v144, v28, v144                              // 00000000DD00: 0B21211C
	v_mul_f32_e32 v145, v28, v145                              // 00000000DD04: 0B23231C
	v_mul_f32_e32 v146, v28, v146                              // 00000000DD08: 0B25251C
	v_mul_f32_e32 v147, v28, v147                              // 00000000DD0C: 0B27271C
	v_mul_f32_e32 v148, v28, v148                              // 00000000DD10: 0B29291C
	v_mul_f32_e32 v149, v28, v149                              // 00000000DD14: 0B2B2B1C
	v_mul_f32_e32 v150, v28, v150                              // 00000000DD18: 0B2D2D1C
	v_mul_f32_e32 v151, v28, v151                              // 00000000DD1C: 0B2F2F1C
	v_mul_f32_e32 v152, v28, v152                              // 00000000DD20: 0B31311C
	v_mul_f32_e32 v153, v28, v153                              // 00000000DD24: 0B33331C
	v_mul_f32_e32 v154, v28, v154                              // 00000000DD28: 0B35351C
	v_mul_f32_e32 v155, v28, v155                              // 00000000DD2C: 0B37371C
	v_mul_f32_e32 v156, v28, v156                              // 00000000DD30: 0B39391C
	v_mul_f32_e32 v157, v28, v157                              // 00000000DD34: 0B3B3B1C
	v_mul_f32_e32 v158, v28, v158                              // 00000000DD38: 0B3D3D1C
	v_mul_f32_e32 v159, v28, v159                              // 00000000DD3C: 0B3F3F1C
	v_mul_f32_e32 v160, v28, v160                              // 00000000DD40: 0B41411C
	v_mul_f32_e32 v161, v28, v161                              // 00000000DD44: 0B43431C
	v_mul_f32_e32 v162, v28, v162                              // 00000000DD48: 0B45451C
	v_mul_f32_e32 v163, v28, v163                              // 00000000DD4C: 0B47471C
	v_mul_f32_e32 v164, v28, v164                              // 00000000DD50: 0B49491C
	v_mul_f32_e32 v165, v28, v165                              // 00000000DD54: 0B4B4B1C
	v_mul_f32_e32 v166, v28, v166                              // 00000000DD58: 0B4D4D1C
	v_mul_f32_e32 v167, v28, v167                              // 00000000DD5C: 0B4F4F1C
	v_mul_f32_e32 v168, v28, v168                              // 00000000DD60: 0B51511C
	v_mul_f32_e32 v169, v28, v169                              // 00000000DD64: 0B53531C
	v_mul_f32_e32 v170, v28, v170                              // 00000000DD68: 0B55551C
	v_mul_f32_e32 v171, v28, v171                              // 00000000DD6C: 0B57571C
	v_mul_f32_e32 v172, v28, v172                              // 00000000DD70: 0B59591C
	v_mul_f32_e32 v173, v28, v173                              // 00000000DD74: 0B5B5B1C
	v_mul_f32_e32 v174, v28, v174                              // 00000000DD78: 0B5D5D1C
	v_mul_f32_e32 v175, v28, v175                              // 00000000DD7C: 0B5F5F1C
	v_mul_f32_e32 v176, v28, v176                              // 00000000DD80: 0B61611C
	v_mul_f32_e32 v177, v28, v177                              // 00000000DD84: 0B63631C
	v_mul_f32_e32 v178, v28, v178                              // 00000000DD88: 0B65651C
	v_mul_f32_e32 v179, v28, v179                              // 00000000DD8C: 0B67671C
	v_mul_f32_e32 v180, v28, v180                              // 00000000DD90: 0B69691C
	v_mul_f32_e32 v181, v28, v181                              // 00000000DD94: 0B6B6B1C
	v_mul_f32_e32 v182, v28, v182                              // 00000000DD98: 0B6D6D1C
	v_mul_f32_e32 v183, v28, v183                              // 00000000DD9C: 0B6F6F1C
	v_mul_f32_e32 v184, v28, v184                              // 00000000DDA0: 0B71711C
	v_mul_f32_e32 v185, v28, v185                              // 00000000DDA4: 0B73731C
	v_mul_f32_e32 v186, v28, v186                              // 00000000DDA8: 0B75751C
	v_mul_f32_e32 v187, v28, v187                              // 00000000DDAC: 0B77771C
	v_mul_f32_e32 v188, v28, v188                              // 00000000DDB0: 0B79791C
	v_mul_f32_e32 v189, v28, v189                              // 00000000DDB4: 0B7B7B1C
	v_mul_f32_e32 v190, v28, v190                              // 00000000DDB8: 0B7D7D1C
	v_mul_f32_e32 v191, v28, v191                              // 00000000DDBC: 0B7F7F1C
	v_mul_f32_e32 v192, v28, v192                              // 00000000DDC0: 0B81811C
	v_mul_f32_e32 v193, v28, v193                              // 00000000DDC4: 0B83831C
	v_mul_f32_e32 v194, v28, v194                              // 00000000DDC8: 0B85851C
	v_mul_f32_e32 v195, v28, v195                              // 00000000DDCC: 0B87871C
	v_mul_f32_e32 v196, v28, v196                              // 00000000DDD0: 0B89891C
	v_mul_f32_e32 v197, v28, v197                              // 00000000DDD4: 0B8B8B1C
	v_mul_f32_e32 v198, v28, v198                              // 00000000DDD8: 0B8D8D1C
	v_mul_f32_e32 v199, v28, v199                              // 00000000DDDC: 0B8F8F1C
	v_mul_f32_e32 v200, v28, v200                              // 00000000DDE0: 0B91911C
	v_mul_f32_e32 v201, v28, v201                              // 00000000DDE4: 0B93931C
	v_mul_f32_e32 v202, v28, v202                              // 00000000DDE8: 0B95951C
	v_mul_f32_e32 v203, v28, v203                              // 00000000DDEC: 0B97971C
	v_mul_f32_e32 v204, v28, v204                              // 00000000DDF0: 0B99991C
	v_mul_f32_e32 v205, v28, v205                              // 00000000DDF4: 0B9B9B1C
	v_mul_f32_e32 v206, v28, v206                              // 00000000DDF8: 0B9D9D1C
	v_mul_f32_e32 v207, v28, v207                              // 00000000DDFC: 0B9F9F1C
	v_mul_f32_e32 v208, v28, v208                              // 00000000DE00: 0BA1A11C
	v_mul_f32_e32 v209, v28, v209                              // 00000000DE04: 0BA3A31C
	v_mul_f32_e32 v210, v28, v210                              // 00000000DE08: 0BA5A51C
	v_mul_f32_e32 v211, v28, v211                              // 00000000DE0C: 0BA7A71C
	v_mul_f32_e32 v212, v28, v212                              // 00000000DE10: 0BA9A91C
	v_mul_f32_e32 v213, v28, v213                              // 00000000DE14: 0BABAB1C
	v_mul_f32_e32 v214, v28, v214                              // 00000000DE18: 0BADAD1C
	v_mul_f32_e32 v215, v28, v215                              // 00000000DE1C: 0BAFAF1C
	v_mul_f32_e32 v216, v28, v216                              // 00000000DE20: 0BB1B11C
	v_mul_f32_e32 v217, v28, v217                              // 00000000DE24: 0BB3B31C
	v_mul_f32_e32 v218, v28, v218                              // 00000000DE28: 0BB5B51C
	v_mul_f32_e32 v219, v28, v219                              // 00000000DE2C: 0BB7B71C
	v_mul_f32_e32 v220, v28, v220                              // 00000000DE30: 0BB9B91C
	v_mul_f32_e32 v221, v28, v221                              // 00000000DE34: 0BBBBB1C
	v_mul_f32_e32 v222, v28, v222                              // 00000000DE38: 0BBDBD1C
	v_mul_f32_e32 v223, v28, v223                              // 00000000DE3C: 0BBFBF1C
	v_accvgpr_read_b32 v29, a144                               // 00000000DE40: D3D8401D 18000190
	v_mul_f32_e32 v29, v28, v29                                // 00000000DE48: 0A3A3B1C
	v_accvgpr_write_b32 a144, v29                              // 00000000DE4C: D3D94090 1800011D
	v_accvgpr_read_b32 v29, a145                               // 00000000DE54: D3D8401D 18000191
	v_mul_f32_e32 v29, v28, v29                                // 00000000DE5C: 0A3A3B1C
	v_accvgpr_write_b32 a145, v29                              // 00000000DE60: D3D94091 1800011D
	v_accvgpr_read_b32 v29, a146                               // 00000000DE68: D3D8401D 18000192
	v_mul_f32_e32 v29, v28, v29                                // 00000000DE70: 0A3A3B1C
	v_accvgpr_write_b32 a146, v29                              // 00000000DE74: D3D94092 1800011D
	v_accvgpr_read_b32 v29, a147                               // 00000000DE7C: D3D8401D 18000193
	v_mul_f32_e32 v29, v28, v29                                // 00000000DE84: 0A3A3B1C
	v_accvgpr_write_b32 a147, v29                              // 00000000DE88: D3D94093 1800011D
	v_accvgpr_read_b32 v29, a148                               // 00000000DE90: D3D8401D 18000194
	v_mul_f32_e32 v29, v28, v29                                // 00000000DE98: 0A3A3B1C
	v_accvgpr_write_b32 a148, v29                              // 00000000DE9C: D3D94094 1800011D
	v_accvgpr_read_b32 v29, a149                               // 00000000DEA4: D3D8401D 18000195
	v_mul_f32_e32 v29, v28, v29                                // 00000000DEAC: 0A3A3B1C
	v_accvgpr_write_b32 a149, v29                              // 00000000DEB0: D3D94095 1800011D
	v_accvgpr_read_b32 v29, a150                               // 00000000DEB8: D3D8401D 18000196
	v_mul_f32_e32 v29, v28, v29                                // 00000000DEC0: 0A3A3B1C
	v_accvgpr_write_b32 a150, v29                              // 00000000DEC4: D3D94096 1800011D
	v_accvgpr_read_b32 v29, a151                               // 00000000DECC: D3D8401D 18000197
	v_mul_f32_e32 v29, v28, v29                                // 00000000DED4: 0A3A3B1C
	v_accvgpr_write_b32 a151, v29                              // 00000000DED8: D3D94097 1800011D
	v_accvgpr_read_b32 v29, a152                               // 00000000DEE0: D3D8401D 18000198
	v_mul_f32_e32 v29, v28, v29                                // 00000000DEE8: 0A3A3B1C
	v_accvgpr_write_b32 a152, v29                              // 00000000DEEC: D3D94098 1800011D
	v_accvgpr_read_b32 v29, a153                               // 00000000DEF4: D3D8401D 18000199
	v_mul_f32_e32 v29, v28, v29                                // 00000000DEFC: 0A3A3B1C
	v_accvgpr_write_b32 a153, v29                              // 00000000DF00: D3D94099 1800011D
	v_accvgpr_read_b32 v29, a154                               // 00000000DF08: D3D8401D 1800019A
	v_mul_f32_e32 v29, v28, v29                                // 00000000DF10: 0A3A3B1C
	v_accvgpr_write_b32 a154, v29                              // 00000000DF14: D3D9409A 1800011D
	v_accvgpr_read_b32 v29, a155                               // 00000000DF1C: D3D8401D 1800019B
	v_mul_f32_e32 v29, v28, v29                                // 00000000DF24: 0A3A3B1C
	v_accvgpr_write_b32 a155, v29                              // 00000000DF28: D3D9409B 1800011D
	v_accvgpr_read_b32 v29, a156                               // 00000000DF30: D3D8401D 1800019C
	v_mul_f32_e32 v29, v28, v29                                // 00000000DF38: 0A3A3B1C
	v_accvgpr_write_b32 a156, v29                              // 00000000DF3C: D3D9409C 1800011D
	v_accvgpr_read_b32 v29, a157                               // 00000000DF44: D3D8401D 1800019D
	v_mul_f32_e32 v29, v28, v29                                // 00000000DF4C: 0A3A3B1C
	v_accvgpr_write_b32 a157, v29                              // 00000000DF50: D3D9409D 1800011D
	v_accvgpr_read_b32 v29, a158                               // 00000000DF58: D3D8401D 1800019E
	v_mul_f32_e32 v29, v28, v29                                // 00000000DF60: 0A3A3B1C
	v_accvgpr_write_b32 a158, v29                              // 00000000DF64: D3D9409E 1800011D
	v_accvgpr_read_b32 v29, a159                               // 00000000DF6C: D3D8401D 1800019F
	v_mul_f32_e32 v29, v28, v29                                // 00000000DF74: 0A3A3B1C
	v_accvgpr_write_b32 a159, v29                              // 00000000DF78: D3D9409F 1800011D
	v_accvgpr_read_b32 v29, a160                               // 00000000DF80: D3D8401D 180001A0
	v_mul_f32_e32 v29, v28, v29                                // 00000000DF88: 0A3A3B1C
	v_accvgpr_write_b32 a160, v29                              // 00000000DF8C: D3D940A0 1800011D
	v_accvgpr_read_b32 v29, a161                               // 00000000DF94: D3D8401D 180001A1
	v_mul_f32_e32 v29, v28, v29                                // 00000000DF9C: 0A3A3B1C
	v_accvgpr_write_b32 a161, v29                              // 00000000DFA0: D3D940A1 1800011D
	v_accvgpr_read_b32 v29, a162                               // 00000000DFA8: D3D8401D 180001A2
	v_mul_f32_e32 v29, v28, v29                                // 00000000DFB0: 0A3A3B1C
	v_accvgpr_write_b32 a162, v29                              // 00000000DFB4: D3D940A2 1800011D
	v_accvgpr_read_b32 v29, a163                               // 00000000DFBC: D3D8401D 180001A3
	v_mul_f32_e32 v29, v28, v29                                // 00000000DFC4: 0A3A3B1C
	v_accvgpr_write_b32 a163, v29                              // 00000000DFC8: D3D940A3 1800011D
	v_accvgpr_read_b32 v29, a164                               // 00000000DFD0: D3D8401D 180001A4
	v_mul_f32_e32 v29, v28, v29                                // 00000000DFD8: 0A3A3B1C
	v_accvgpr_write_b32 a164, v29                              // 00000000DFDC: D3D940A4 1800011D
	v_accvgpr_read_b32 v29, a165                               // 00000000DFE4: D3D8401D 180001A5
	v_mul_f32_e32 v29, v28, v29                                // 00000000DFEC: 0A3A3B1C
	v_accvgpr_write_b32 a165, v29                              // 00000000DFF0: D3D940A5 1800011D
	v_accvgpr_read_b32 v29, a166                               // 00000000DFF8: D3D8401D 180001A6
	v_mul_f32_e32 v29, v28, v29                                // 00000000E000: 0A3A3B1C
	v_accvgpr_write_b32 a166, v29                              // 00000000E004: D3D940A6 1800011D
	v_accvgpr_read_b32 v29, a167                               // 00000000E00C: D3D8401D 180001A7
	v_mul_f32_e32 v29, v28, v29                                // 00000000E014: 0A3A3B1C
	v_accvgpr_write_b32 a167, v29                              // 00000000E018: D3D940A7 1800011D
	v_accvgpr_read_b32 v29, a168                               // 00000000E020: D3D8401D 180001A8
	v_mul_f32_e32 v29, v28, v29                                // 00000000E028: 0A3A3B1C
	v_accvgpr_write_b32 a168, v29                              // 00000000E02C: D3D940A8 1800011D
	v_accvgpr_read_b32 v29, a169                               // 00000000E034: D3D8401D 180001A9
	v_mul_f32_e32 v29, v28, v29                                // 00000000E03C: 0A3A3B1C
	v_accvgpr_write_b32 a169, v29                              // 00000000E040: D3D940A9 1800011D
	v_accvgpr_read_b32 v29, a170                               // 00000000E048: D3D8401D 180001AA
	v_mul_f32_e32 v29, v28, v29                                // 00000000E050: 0A3A3B1C
	v_accvgpr_write_b32 a170, v29                              // 00000000E054: D3D940AA 1800011D
	v_accvgpr_read_b32 v29, a171                               // 00000000E05C: D3D8401D 180001AB
	v_mul_f32_e32 v29, v28, v29                                // 00000000E064: 0A3A3B1C
	v_accvgpr_write_b32 a171, v29                              // 00000000E068: D3D940AB 1800011D
	v_accvgpr_read_b32 v29, a172                               // 00000000E070: D3D8401D 180001AC
	v_mul_f32_e32 v29, v28, v29                                // 00000000E078: 0A3A3B1C
	v_accvgpr_write_b32 a172, v29                              // 00000000E07C: D3D940AC 1800011D
	v_accvgpr_read_b32 v29, a173                               // 00000000E084: D3D8401D 180001AD
	v_mul_f32_e32 v29, v28, v29                                // 00000000E08C: 0A3A3B1C
	v_accvgpr_write_b32 a173, v29                              // 00000000E090: D3D940AD 1800011D
	v_accvgpr_read_b32 v29, a174                               // 00000000E098: D3D8401D 180001AE
	v_mul_f32_e32 v29, v28, v29                                // 00000000E0A0: 0A3A3B1C
	v_accvgpr_write_b32 a174, v29                              // 00000000E0A4: D3D940AE 1800011D
	v_accvgpr_read_b32 v29, a175                               // 00000000E0AC: D3D8401D 180001AF
	v_mul_f32_e32 v29, v28, v29                                // 00000000E0B4: 0A3A3B1C
	v_accvgpr_write_b32 a175, v29                              // 00000000E0B8: D3D940AF 1800011D
	v_accvgpr_read_b32 v29, a176                               // 00000000E0C0: D3D8401D 180001B0
	v_mul_f32_e32 v29, v28, v29                                // 00000000E0C8: 0A3A3B1C
	v_accvgpr_write_b32 a176, v29                              // 00000000E0CC: D3D940B0 1800011D
	v_accvgpr_read_b32 v29, a177                               // 00000000E0D4: D3D8401D 180001B1
	v_mul_f32_e32 v29, v28, v29                                // 00000000E0DC: 0A3A3B1C
	v_accvgpr_write_b32 a177, v29                              // 00000000E0E0: D3D940B1 1800011D
	v_accvgpr_read_b32 v29, a178                               // 00000000E0E8: D3D8401D 180001B2
	v_mul_f32_e32 v29, v28, v29                                // 00000000E0F0: 0A3A3B1C
	v_accvgpr_write_b32 a178, v29                              // 00000000E0F4: D3D940B2 1800011D
	v_accvgpr_read_b32 v29, a179                               // 00000000E0FC: D3D8401D 180001B3
	v_mul_f32_e32 v29, v28, v29                                // 00000000E104: 0A3A3B1C
	v_accvgpr_write_b32 a179, v29                              // 00000000E108: D3D940B3 1800011D
	v_accvgpr_read_b32 v29, a180                               // 00000000E110: D3D8401D 180001B4
	v_mul_f32_e32 v29, v28, v29                                // 00000000E118: 0A3A3B1C
	v_accvgpr_write_b32 a180, v29                              // 00000000E11C: D3D940B4 1800011D
	v_accvgpr_read_b32 v29, a181                               // 00000000E124: D3D8401D 180001B5
	v_mul_f32_e32 v29, v28, v29                                // 00000000E12C: 0A3A3B1C
	v_accvgpr_write_b32 a181, v29                              // 00000000E130: D3D940B5 1800011D
	v_accvgpr_read_b32 v29, a182                               // 00000000E138: D3D8401D 180001B6
	v_mul_f32_e32 v29, v28, v29                                // 00000000E140: 0A3A3B1C
	v_accvgpr_write_b32 a182, v29                              // 00000000E144: D3D940B6 1800011D
	v_accvgpr_read_b32 v29, a183                               // 00000000E14C: D3D8401D 180001B7
	v_mul_f32_e32 v29, v28, v29                                // 00000000E154: 0A3A3B1C
	v_accvgpr_write_b32 a183, v29                              // 00000000E158: D3D940B7 1800011D
	v_accvgpr_read_b32 v29, a184                               // 00000000E160: D3D8401D 180001B8
	v_mul_f32_e32 v29, v28, v29                                // 00000000E168: 0A3A3B1C
	v_accvgpr_write_b32 a184, v29                              // 00000000E16C: D3D940B8 1800011D
	v_accvgpr_read_b32 v29, a185                               // 00000000E174: D3D8401D 180001B9
	v_mul_f32_e32 v29, v28, v29                                // 00000000E17C: 0A3A3B1C
	v_accvgpr_write_b32 a185, v29                              // 00000000E180: D3D940B9 1800011D
	v_accvgpr_read_b32 v29, a186                               // 00000000E188: D3D8401D 180001BA
	v_mul_f32_e32 v29, v28, v29                                // 00000000E190: 0A3A3B1C
	v_accvgpr_write_b32 a186, v29                              // 00000000E194: D3D940BA 1800011D
	v_accvgpr_read_b32 v29, a187                               // 00000000E19C: D3D8401D 180001BB
	v_mul_f32_e32 v29, v28, v29                                // 00000000E1A4: 0A3A3B1C
	v_accvgpr_write_b32 a187, v29                              // 00000000E1A8: D3D940BB 1800011D
	v_accvgpr_read_b32 v29, a188                               // 00000000E1B0: D3D8401D 180001BC
	v_mul_f32_e32 v29, v28, v29                                // 00000000E1B8: 0A3A3B1C
	v_accvgpr_write_b32 a188, v29                              // 00000000E1BC: D3D940BC 1800011D
	v_accvgpr_read_b32 v29, a189                               // 00000000E1C4: D3D8401D 180001BD
	v_mul_f32_e32 v29, v28, v29                                // 00000000E1CC: 0A3A3B1C
	v_accvgpr_write_b32 a189, v29                              // 00000000E1D0: D3D940BD 1800011D
	v_accvgpr_read_b32 v29, a190                               // 00000000E1D8: D3D8401D 180001BE
	v_mul_f32_e32 v29, v28, v29                                // 00000000E1E0: 0A3A3B1C
	v_accvgpr_write_b32 a190, v29                              // 00000000E1E4: D3D940BE 1800011D
	v_accvgpr_read_b32 v29, a191                               // 00000000E1EC: D3D8401D 180001BF
	v_mul_f32_e32 v29, v28, v29                                // 00000000E1F4: 0A3A3B1C
	v_accvgpr_write_b32 a191, v29                              // 00000000E1F8: D3D940BF 1800011D
	v_accvgpr_read_b32 v29, a192                               // 00000000E200: D3D8401D 180001C0
	v_mul_f32_e32 v29, v28, v29                                // 00000000E208: 0A3A3B1C
	v_accvgpr_write_b32 a192, v29                              // 00000000E20C: D3D940C0 1800011D
	v_accvgpr_read_b32 v29, a193                               // 00000000E214: D3D8401D 180001C1
	v_mul_f32_e32 v29, v28, v29                                // 00000000E21C: 0A3A3B1C
	v_accvgpr_write_b32 a193, v29                              // 00000000E220: D3D940C1 1800011D
	v_accvgpr_read_b32 v29, a194                               // 00000000E228: D3D8401D 180001C2
	v_mul_f32_e32 v29, v28, v29                                // 00000000E230: 0A3A3B1C
	v_accvgpr_write_b32 a194, v29                              // 00000000E234: D3D940C2 1800011D
	v_accvgpr_read_b32 v29, a195                               // 00000000E23C: D3D8401D 180001C3
	v_mul_f32_e32 v29, v28, v29                                // 00000000E244: 0A3A3B1C
	v_accvgpr_write_b32 a195, v29                              // 00000000E248: D3D940C3 1800011D
	v_accvgpr_read_b32 v29, a196                               // 00000000E250: D3D8401D 180001C4
	v_mul_f32_e32 v29, v28, v29                                // 00000000E258: 0A3A3B1C
	v_accvgpr_write_b32 a196, v29                              // 00000000E25C: D3D940C4 1800011D
	v_accvgpr_read_b32 v29, a197                               // 00000000E264: D3D8401D 180001C5
	v_mul_f32_e32 v29, v28, v29                                // 00000000E26C: 0A3A3B1C
	v_accvgpr_write_b32 a197, v29                              // 00000000E270: D3D940C5 1800011D
	v_accvgpr_read_b32 v29, a198                               // 00000000E278: D3D8401D 180001C6
	v_mul_f32_e32 v29, v28, v29                                // 00000000E280: 0A3A3B1C
	v_accvgpr_write_b32 a198, v29                              // 00000000E284: D3D940C6 1800011D
	v_accvgpr_read_b32 v29, a199                               // 00000000E28C: D3D8401D 180001C7
	v_mul_f32_e32 v29, v28, v29                                // 00000000E294: 0A3A3B1C
	v_accvgpr_write_b32 a199, v29                              // 00000000E298: D3D940C7 1800011D
	v_accvgpr_read_b32 v29, a200                               // 00000000E2A0: D3D8401D 180001C8
	v_mul_f32_e32 v29, v28, v29                                // 00000000E2A8: 0A3A3B1C
	v_accvgpr_write_b32 a200, v29                              // 00000000E2AC: D3D940C8 1800011D
	v_accvgpr_read_b32 v29, a201                               // 00000000E2B4: D3D8401D 180001C9
	v_mul_f32_e32 v29, v28, v29                                // 00000000E2BC: 0A3A3B1C
	v_accvgpr_write_b32 a201, v29                              // 00000000E2C0: D3D940C9 1800011D
	v_accvgpr_read_b32 v29, a202                               // 00000000E2C8: D3D8401D 180001CA
	v_mul_f32_e32 v29, v28, v29                                // 00000000E2D0: 0A3A3B1C
	v_accvgpr_write_b32 a202, v29                              // 00000000E2D4: D3D940CA 1800011D
	v_accvgpr_read_b32 v29, a203                               // 00000000E2DC: D3D8401D 180001CB
	v_mul_f32_e32 v29, v28, v29                                // 00000000E2E4: 0A3A3B1C
	v_accvgpr_write_b32 a203, v29                              // 00000000E2E8: D3D940CB 1800011D
	v_accvgpr_read_b32 v29, a204                               // 00000000E2F0: D3D8401D 180001CC
	v_mul_f32_e32 v29, v28, v29                                // 00000000E2F8: 0A3A3B1C
	v_accvgpr_write_b32 a204, v29                              // 00000000E2FC: D3D940CC 1800011D
	v_accvgpr_read_b32 v29, a205                               // 00000000E304: D3D8401D 180001CD
	v_mul_f32_e32 v29, v28, v29                                // 00000000E30C: 0A3A3B1C
	v_accvgpr_write_b32 a205, v29                              // 00000000E310: D3D940CD 1800011D
	v_accvgpr_read_b32 v29, a206                               // 00000000E318: D3D8401D 180001CE
	v_mul_f32_e32 v29, v28, v29                                // 00000000E320: 0A3A3B1C
	v_accvgpr_write_b32 a206, v29                              // 00000000E324: D3D940CE 1800011D
	v_accvgpr_read_b32 v29, a207                               // 00000000E32C: D3D8401D 180001CF
	v_mul_f32_e32 v29, v28, v29                                // 00000000E334: 0A3A3B1C
	v_accvgpr_write_b32 a207, v29                              // 00000000E338: D3D940CF 1800011D
	v_accvgpr_read_b32 v29, a208                               // 00000000E340: D3D8401D 180001D0
	v_mul_f32_e32 v29, v28, v29                                // 00000000E348: 0A3A3B1C
	v_accvgpr_write_b32 a208, v29                              // 00000000E34C: D3D940D0 1800011D
	v_accvgpr_read_b32 v29, a209                               // 00000000E354: D3D8401D 180001D1
	v_mul_f32_e32 v29, v28, v29                                // 00000000E35C: 0A3A3B1C
	v_accvgpr_write_b32 a209, v29                              // 00000000E360: D3D940D1 1800011D
	v_accvgpr_read_b32 v29, a210                               // 00000000E368: D3D8401D 180001D2
	v_mul_f32_e32 v29, v28, v29                                // 00000000E370: 0A3A3B1C
	v_accvgpr_write_b32 a210, v29                              // 00000000E374: D3D940D2 1800011D
	v_accvgpr_read_b32 v29, a211                               // 00000000E37C: D3D8401D 180001D3
	v_mul_f32_e32 v29, v28, v29                                // 00000000E384: 0A3A3B1C
	v_accvgpr_write_b32 a211, v29                              // 00000000E388: D3D940D3 1800011D
	v_accvgpr_read_b32 v29, a212                               // 00000000E390: D3D8401D 180001D4
	v_mul_f32_e32 v29, v28, v29                                // 00000000E398: 0A3A3B1C
	v_accvgpr_write_b32 a212, v29                              // 00000000E39C: D3D940D4 1800011D
	v_accvgpr_read_b32 v29, a213                               // 00000000E3A4: D3D8401D 180001D5
	v_mul_f32_e32 v29, v28, v29                                // 00000000E3AC: 0A3A3B1C
	v_accvgpr_write_b32 a213, v29                              // 00000000E3B0: D3D940D5 1800011D
	v_accvgpr_read_b32 v29, a214                               // 00000000E3B8: D3D8401D 180001D6
	v_mul_f32_e32 v29, v28, v29                                // 00000000E3C0: 0A3A3B1C
	v_accvgpr_write_b32 a214, v29                              // 00000000E3C4: D3D940D6 1800011D
	v_accvgpr_read_b32 v29, a215                               // 00000000E3CC: D3D8401D 180001D7
	v_mul_f32_e32 v29, v28, v29                                // 00000000E3D4: 0A3A3B1C
	v_accvgpr_write_b32 a215, v29                              // 00000000E3D8: D3D940D7 1800011D
	v_accvgpr_read_b32 v29, a216                               // 00000000E3E0: D3D8401D 180001D8
	v_mul_f32_e32 v29, v28, v29                                // 00000000E3E8: 0A3A3B1C
	v_accvgpr_write_b32 a216, v29                              // 00000000E3EC: D3D940D8 1800011D
	v_accvgpr_read_b32 v29, a217                               // 00000000E3F4: D3D8401D 180001D9
	v_mul_f32_e32 v29, v28, v29                                // 00000000E3FC: 0A3A3B1C
	v_accvgpr_write_b32 a217, v29                              // 00000000E400: D3D940D9 1800011D
	v_accvgpr_read_b32 v29, a218                               // 00000000E408: D3D8401D 180001DA
	v_mul_f32_e32 v29, v28, v29                                // 00000000E410: 0A3A3B1C
	v_accvgpr_write_b32 a218, v29                              // 00000000E414: D3D940DA 1800011D
	v_accvgpr_read_b32 v29, a219                               // 00000000E41C: D3D8401D 180001DB
	v_mul_f32_e32 v29, v28, v29                                // 00000000E424: 0A3A3B1C
	v_accvgpr_write_b32 a219, v29                              // 00000000E428: D3D940DB 1800011D
	v_accvgpr_read_b32 v29, a220                               // 00000000E430: D3D8401D 180001DC
	v_mul_f32_e32 v29, v28, v29                                // 00000000E438: 0A3A3B1C
	v_accvgpr_write_b32 a220, v29                              // 00000000E43C: D3D940DC 1800011D
	v_accvgpr_read_b32 v29, a221                               // 00000000E444: D3D8401D 180001DD
	v_mul_f32_e32 v29, v28, v29                                // 00000000E44C: 0A3A3B1C
	v_accvgpr_write_b32 a221, v29                              // 00000000E450: D3D940DD 1800011D
	v_accvgpr_read_b32 v29, a222                               // 00000000E458: D3D8401D 180001DE
	v_mul_f32_e32 v29, v28, v29                                // 00000000E460: 0A3A3B1C
	v_accvgpr_write_b32 a222, v29                              // 00000000E464: D3D940DE 1800011D
	v_accvgpr_read_b32 v29, a223                               // 00000000E46C: D3D8401D 180001DF
	v_mul_f32_e32 v29, v28, v29                                // 00000000E474: 0A3A3B1C
	v_accvgpr_write_b32 a223, v29                              // 00000000E478: D3D940DF 1800011D
	v_accvgpr_read_b32 v29, a224                               // 00000000E480: D3D8401D 180001E0
	v_mul_f32_e32 v29, v28, v29                                // 00000000E488: 0A3A3B1C
	v_accvgpr_write_b32 a224, v29                              // 00000000E48C: D3D940E0 1800011D
	v_accvgpr_read_b32 v29, a225                               // 00000000E494: D3D8401D 180001E1
	v_mul_f32_e32 v29, v28, v29                                // 00000000E49C: 0A3A3B1C
	v_accvgpr_write_b32 a225, v29                              // 00000000E4A0: D3D940E1 1800011D
	v_accvgpr_read_b32 v29, a226                               // 00000000E4A8: D3D8401D 180001E2
	v_mul_f32_e32 v29, v28, v29                                // 00000000E4B0: 0A3A3B1C
	v_accvgpr_write_b32 a226, v29                              // 00000000E4B4: D3D940E2 1800011D
	v_accvgpr_read_b32 v29, a227                               // 00000000E4BC: D3D8401D 180001E3
	v_mul_f32_e32 v29, v28, v29                                // 00000000E4C4: 0A3A3B1C
	v_accvgpr_write_b32 a227, v29                              // 00000000E4C8: D3D940E3 1800011D
	v_accvgpr_read_b32 v29, a228                               // 00000000E4D0: D3D8401D 180001E4
	v_mul_f32_e32 v29, v28, v29                                // 00000000E4D8: 0A3A3B1C
	v_accvgpr_write_b32 a228, v29                              // 00000000E4DC: D3D940E4 1800011D
	v_accvgpr_read_b32 v29, a229                               // 00000000E4E4: D3D8401D 180001E5
	v_mul_f32_e32 v29, v28, v29                                // 00000000E4EC: 0A3A3B1C
	v_accvgpr_write_b32 a229, v29                              // 00000000E4F0: D3D940E5 1800011D
	v_accvgpr_read_b32 v29, a230                               // 00000000E4F8: D3D8401D 180001E6
	v_mul_f32_e32 v29, v28, v29                                // 00000000E500: 0A3A3B1C
	v_accvgpr_write_b32 a230, v29                              // 00000000E504: D3D940E6 1800011D
	v_accvgpr_read_b32 v29, a231                               // 00000000E50C: D3D8401D 180001E7
	v_mul_f32_e32 v29, v28, v29                                // 00000000E514: 0A3A3B1C
	v_accvgpr_write_b32 a231, v29                              // 00000000E518: D3D940E7 1800011D
	v_accvgpr_read_b32 v29, a232                               // 00000000E520: D3D8401D 180001E8
	v_mul_f32_e32 v29, v28, v29                                // 00000000E528: 0A3A3B1C
	v_accvgpr_write_b32 a232, v29                              // 00000000E52C: D3D940E8 1800011D
	v_accvgpr_read_b32 v29, a233                               // 00000000E534: D3D8401D 180001E9
	v_mul_f32_e32 v29, v28, v29                                // 00000000E53C: 0A3A3B1C
	v_accvgpr_write_b32 a233, v29                              // 00000000E540: D3D940E9 1800011D
	v_accvgpr_read_b32 v29, a234                               // 00000000E548: D3D8401D 180001EA
	v_mul_f32_e32 v29, v28, v29                                // 00000000E550: 0A3A3B1C
	v_accvgpr_write_b32 a234, v29                              // 00000000E554: D3D940EA 1800011D
	v_accvgpr_read_b32 v29, a235                               // 00000000E55C: D3D8401D 180001EB
	v_mul_f32_e32 v29, v28, v29                                // 00000000E564: 0A3A3B1C
	v_accvgpr_write_b32 a235, v29                              // 00000000E568: D3D940EB 1800011D
	v_accvgpr_read_b32 v29, a236                               // 00000000E570: D3D8401D 180001EC
	v_mul_f32_e32 v29, v28, v29                                // 00000000E578: 0A3A3B1C
	v_accvgpr_write_b32 a236, v29                              // 00000000E57C: D3D940EC 1800011D
	v_accvgpr_read_b32 v29, a237                               // 00000000E584: D3D8401D 180001ED
	v_mul_f32_e32 v29, v28, v29                                // 00000000E58C: 0A3A3B1C
	v_accvgpr_write_b32 a237, v29                              // 00000000E590: D3D940ED 1800011D
	v_accvgpr_read_b32 v29, a238                               // 00000000E598: D3D8401D 180001EE
	v_mul_f32_e32 v29, v28, v29                                // 00000000E5A0: 0A3A3B1C
	v_accvgpr_write_b32 a238, v29                              // 00000000E5A4: D3D940EE 1800011D
	v_accvgpr_read_b32 v29, a239                               // 00000000E5AC: D3D8401D 180001EF
	v_mul_f32_e32 v29, v28, v29                                // 00000000E5B4: 0A3A3B1C
	v_accvgpr_write_b32 a239, v29                              // 00000000E5B8: D3D940EF 1800011D
	v_mfma_f32_32x32x64_f8f6f4 v[64:79], a[72:79], v[32:39], v[64:79]// 00000000E5C0: D3AE0040 0D024148
	v_mfma_f32_32x32x64_f8f6f4 v[80:95], a[80:87], v[32:39], v[80:95]// 00000000E5C8: D3AE0050 0D424150
	v_mfma_f32_32x32x64_f8f6f4 v[96:111], a[88:95], v[32:39], v[96:111]// 00000000E5D0: D3AE0060 0D824158
	v_mfma_f32_32x32x64_f8f6f4 v[112:127], a[96:103], v[32:39], v[112:127]// 00000000E5D8: D3AE0070 0DC24160
	v_mfma_f32_32x32x64_f8f6f4 v[128:143], a[104:111], v[32:39], v[128:143]// 00000000E5E0: D3AE0080 0E024168
	v_mfma_f32_32x32x64_f8f6f4 v[144:159], a[112:119], v[32:39], v[144:159]// 00000000E5E8: D3AE0090 0E424170
	v_mfma_f32_32x32x64_f8f6f4 v[160:175], a[120:127], v[32:39], v[160:175]// 00000000E5F0: D3AE00A0 0E824178
	v_mfma_f32_32x32x64_f8f6f4 v[176:191], a[128:135], v[32:39], v[176:191]// 00000000E5F8: D3AE00B0 0EC24180
	ds_read_b64_tr_b8 a[72:73], v9 offset:4096                 // 00000000E600: DBC41000 48000009
	ds_read_b64_tr_b8 a[74:75], v10 offset:4096                // 00000000E608: DBC41000 4A00000A
	ds_read_b64_tr_b8 a[76:77], v9 offset:22528                // 00000000E610: DBC45800 4C000009
	ds_read_b64_tr_b8 a[78:79], v10 offset:22528               // 00000000E618: DBC45800 4E00000A
	ds_read_b64_tr_b8 a[80:81], v11 offset:4096                // 00000000E620: DBC41000 5000000B
	ds_read_b64_tr_b8 a[82:83], v12 offset:4096                // 00000000E628: DBC41000 5200000C
	ds_read_b64_tr_b8 a[84:85], v11 offset:22528               // 00000000E630: DBC45800 5400000B
	ds_read_b64_tr_b8 a[86:87], v12 offset:22528               // 00000000E638: DBC45800 5600000C
	ds_read_b64_tr_b8 a[88:89], v9 offset:5120                 // 00000000E640: DBC41400 58000009
	ds_read_b64_tr_b8 a[90:91], v10 offset:5120                // 00000000E648: DBC41400 5A00000A
	ds_read_b64_tr_b8 a[92:93], v9 offset:23552                // 00000000E650: DBC45C00 5C000009
	ds_read_b64_tr_b8 a[94:95], v10 offset:23552               // 00000000E658: DBC45C00 5E00000A
	ds_read_b64_tr_b8 a[96:97], v11 offset:5120                // 00000000E660: DBC41400 6000000B
	ds_read_b64_tr_b8 a[98:99], v12 offset:5120                // 00000000E668: DBC41400 6200000C
	ds_read_b64_tr_b8 a[100:101], v11 offset:23552             // 00000000E670: DBC45C00 6400000B
	ds_read_b64_tr_b8 a[102:103], v12 offset:23552             // 00000000E678: DBC45C00 6600000C
	ds_read_b64_tr_b8 a[104:105], v9 offset:6144               // 00000000E680: DBC41800 68000009
	ds_read_b64_tr_b8 a[106:107], v10 offset:6144              // 00000000E688: DBC41800 6A00000A
	ds_read_b64_tr_b8 a[108:109], v9 offset:24576              // 00000000E690: DBC46000 6C000009
	ds_read_b64_tr_b8 a[110:111], v10 offset:24576             // 00000000E698: DBC46000 6E00000A
	ds_read_b64_tr_b8 a[112:113], v11 offset:6144              // 00000000E6A0: DBC41800 7000000B
	ds_read_b64_tr_b8 a[114:115], v12 offset:6144              // 00000000E6A8: DBC41800 7200000C
	ds_read_b64_tr_b8 a[116:117], v11 offset:24576             // 00000000E6B0: DBC46000 7400000B
	ds_read_b64_tr_b8 a[118:119], v12 offset:24576             // 00000000E6B8: DBC46000 7600000C
	ds_read_b64_tr_b8 a[120:121], v9 offset:7168               // 00000000E6C0: DBC41C00 78000009
	ds_read_b64_tr_b8 a[122:123], v10 offset:7168              // 00000000E6C8: DBC41C00 7A00000A
	ds_read_b64_tr_b8 a[124:125], v9 offset:25600              // 00000000E6D0: DBC46400 7C000009
	ds_read_b64_tr_b8 a[126:127], v10 offset:25600             // 00000000E6D8: DBC46400 7E00000A
	ds_read_b64_tr_b8 a[128:129], v11 offset:7168              // 00000000E6E0: DBC41C00 8000000B
	ds_read_b64_tr_b8 a[130:131], v12 offset:7168              // 00000000E6E8: DBC41C00 8200000C
	ds_read_b64_tr_b8 a[132:133], v11 offset:25600             // 00000000E6F0: DBC46400 8400000B
	ds_read_b64_tr_b8 a[134:135], v12 offset:25600             // 00000000E6F8: DBC46400 8600000C
	s_waitcnt lgkmcnt(0)                                       // 00000000E700: BF8CC07F
	v_mfma_f32_32x32x64_f8f6f4 v[192:207], a[72:79], v[32:39], v[192:207]// 00000000E704: D3AE00C0 0F024148
	v_mfma_f32_32x32x64_f8f6f4 v[208:223], a[80:87], v[32:39], v[208:223]// 00000000E70C: D3AE00D0 0F424150
	v_mfma_f32_32x32x64_f8f6f4 a[144:159], a[88:95], v[32:39], a[144:159]// 00000000E714: D3AE8090 0E424158
	v_mfma_f32_32x32x64_f8f6f4 a[160:175], a[96:103], v[32:39], a[160:175]// 00000000E71C: D3AE80A0 0E824160
	v_mfma_f32_32x32x64_f8f6f4 a[176:191], a[104:111], v[32:39], a[176:191]// 00000000E724: D3AE80B0 0EC24168
	v_mfma_f32_32x32x64_f8f6f4 a[192:207], a[112:119], v[32:39], a[192:207]// 00000000E72C: D3AE80C0 0F024170
	v_mfma_f32_32x32x64_f8f6f4 a[208:223], a[120:127], v[32:39], a[208:223]// 00000000E734: D3AE80D0 0F424178
	v_mfma_f32_32x32x64_f8f6f4 a[224:239], a[128:135], v[32:39], a[224:239]// 00000000E73C: D3AE80E0 0F824180
	s_nop 8                                                    // 00000000E744: BF800008
	s_branch label_DE04                                        // 00000000E748: BF8205EC

000000000000e74c <label_C44C>:
	s_waitcnt lgkmcnt(4)                                       // 00000000E74C: BF8CC47F
	v_mfma_f32_32x32x64_f8f6f4 v[32:47], a[72:79], a[0:7], 0   // 00000000E750: D3AE0020 1A020148
	v_mfma_f32_32x32x64_f8f6f4 v[32:47], a[80:87], a[8:15], v[32:47]// 00000000E758: D3AE0020 1C821150
	v_mfma_f32_32x32x64_f8f6f4 v[32:47], a[88:95], a[16:23], v[32:47]// 00000000E760: D3AE0020 1C822158
	ds_read_b128 a[72:75], v22 offset:18432                    // 00000000E768: DBFE4800 48000016
	ds_read_b128 a[76:79], v23 offset:18432                    // 00000000E770: DBFE4800 4C000017
	v_mfma_f32_32x32x64_f8f6f4 v[32:47], a[96:103], a[24:31], v[32:47]// 00000000E778: D3AE0020 1C823160
	ds_read_b128 a[80:83], v22 offset:19456                    // 00000000E780: DBFE4C00 50000016
	ds_read_b128 a[84:87], v23 offset:19456                    // 00000000E788: DBFE4C00 54000017
	v_mfma_f32_32x32x64_f8f6f4 v[32:47], a[104:111], a[32:39], v[32:47]// 00000000E790: D3AE0020 1C824168
	ds_read_b128 a[88:91], v22 offset:20480                    // 00000000E798: DBFE5000 58000016
	ds_read_b128 a[92:95], v23 offset:20480                    // 00000000E7A0: DBFE5000 5C000017
	v_mfma_f32_32x32x64_f8f6f4 v[32:47], a[112:119], a[40:47], v[32:47]// 00000000E7A8: D3AE0020 1C825170
	ds_read_b128 a[96:99], v22 offset:21504                    // 00000000E7B0: DBFE5400 60000016
	ds_read_b128 a[100:103], v23 offset:21504                  // 00000000E7B8: DBFE5400 64000017
	v_mfma_f32_32x32x64_f8f6f4 v[32:47], a[120:127], a[48:55], v[32:47]// 00000000E7C0: D3AE0020 1C826178
	ds_read_b128 a[104:107], v22 offset:22528                  // 00000000E7C8: DBFE5800 68000016
	ds_read_b128 a[108:111], v23 offset:22528                  // 00000000E7D0: DBFE5800 6C000017
	v_mfma_f32_32x32x64_f8f6f4 v[32:47], a[128:135], a[56:63], v[32:47]// 00000000E7D8: D3AE0020 1C827180
	ds_read_b128 a[112:115], v22 offset:23552                  // 00000000E7E0: DBFE5C00 70000016
	ds_read_b128 a[116:119], v23 offset:23552                  // 00000000E7E8: DBFE5C00 74000017
	v_mfma_f32_32x32x64_f8f6f4 v[32:47], a[136:143], a[64:71], v[32:47]// 00000000E7F0: D3AE0020 1C828188
	ds_read_b128 a[120:123], v22 offset:24576                  // 00000000E7F8: DBFE6000 78000016
	ds_read_b128 a[124:127], v23 offset:24576                  // 00000000E800: DBFE6000 7C000017
	ds_read_b128 a[128:131], v22 offset:25600                  // 00000000E808: DBFE6400 80000016
	ds_read_b128 a[132:135], v23 offset:25600                  // 00000000E810: DBFE6400 84000017
	ds_read_b128 a[136:139], v22 offset:26624                  // 00000000E818: DBFE6800 88000016
	ds_read_b128 a[140:143], v23 offset:26624                  // 00000000E820: DBFE6800 8C000017
	s_waitcnt lgkmcnt(4)                                       // 00000000E828: BF8CC47F
	v_mfma_f32_32x32x64_f8f6f4 v[48:63], a[72:79], a[0:7], 0   // 00000000E82C: D3AE0030 1A020148
	v_mfma_f32_32x32x64_f8f6f4 v[48:63], a[80:87], a[8:15], v[48:63]// 00000000E834: D3AE0030 1CC21150
	v_mfma_f32_32x32x64_f8f6f4 v[48:63], a[88:95], a[16:23], v[48:63]// 00000000E83C: D3AE0030 1CC22158
	ds_read_b64_tr_b8 a[72:73], v13                            // 00000000E844: DBC40000 4800000D
	ds_read_b64_tr_b8 a[74:75], v14                            // 00000000E84C: DBC40000 4A00000E
	ds_read_b64_tr_b8 a[76:77], v13 offset:18432               // 00000000E854: DBC44800 4C00000D
	ds_read_b64_tr_b8 a[78:79], v14 offset:18432               // 00000000E85C: DBC44800 4E00000E
	v_mfma_f32_32x32x64_f8f6f4 v[48:63], a[96:103], a[24:31], v[48:63]// 00000000E864: D3AE0030 1CC23160
	ds_read_b64_tr_b8 a[80:81], v15                            // 00000000E86C: DBC40000 5000000F
	ds_read_b64_tr_b8 a[82:83], v16                            // 00000000E874: DBC40000 52000010
	ds_read_b64_tr_b8 a[84:85], v15 offset:18432               // 00000000E87C: DBC44800 5400000F
	ds_read_b64_tr_b8 a[86:87], v16 offset:18432               // 00000000E884: DBC44800 56000010
	v_mfma_f32_32x32x64_f8f6f4 v[48:63], a[104:111], a[32:39], v[48:63]// 00000000E88C: D3AE0030 1CC24168
	ds_read_b64_tr_b8 a[88:89], v13 offset:1024                // 00000000E894: DBC40400 5800000D
	ds_read_b64_tr_b8 a[90:91], v14 offset:1024                // 00000000E89C: DBC40400 5A00000E
	ds_read_b64_tr_b8 a[92:93], v13 offset:19456               // 00000000E8A4: DBC44C00 5C00000D
	ds_read_b64_tr_b8 a[94:95], v14 offset:19456               // 00000000E8AC: DBC44C00 5E00000E
	v_mfma_f32_32x32x64_f8f6f4 v[48:63], a[112:119], a[40:47], v[48:63]// 00000000E8B4: D3AE0030 1CC25170
	ds_read_b64_tr_b8 a[96:97], v15 offset:1024                // 00000000E8BC: DBC40400 6000000F
	ds_read_b64_tr_b8 a[98:99], v16 offset:1024                // 00000000E8C4: DBC40400 62000010
	ds_read_b64_tr_b8 a[100:101], v15 offset:19456             // 00000000E8CC: DBC44C00 6400000F
	ds_read_b64_tr_b8 a[102:103], v16 offset:19456             // 00000000E8D4: DBC44C00 66000010
	v_mfma_f32_32x32x64_f8f6f4 v[48:63], a[120:127], a[48:55], v[48:63]// 00000000E8DC: D3AE0030 1CC26178
	ds_read_b64_tr_b8 a[104:105], v13 offset:2048              // 00000000E8E4: DBC40800 6800000D
	ds_read_b64_tr_b8 a[106:107], v14 offset:2048              // 00000000E8EC: DBC40800 6A00000E
	ds_read_b64_tr_b8 a[108:109], v13 offset:20480             // 00000000E8F4: DBC45000 6C00000D
	ds_read_b64_tr_b8 a[110:111], v14 offset:20480             // 00000000E8FC: DBC45000 6E00000E
	v_mfma_f32_32x32x64_f8f6f4 v[48:63], a[128:135], a[56:63], v[48:63]// 00000000E904: D3AE0030 1CC27180
	ds_read_b64_tr_b8 a[112:113], v15 offset:2048              // 00000000E90C: DBC40800 7000000F
	ds_read_b64_tr_b8 a[114:115], v16 offset:2048              // 00000000E914: DBC40800 72000010
	ds_read_b64_tr_b8 a[116:117], v15 offset:20480             // 00000000E91C: DBC45000 7400000F
	ds_read_b64_tr_b8 a[118:119], v16 offset:20480             // 00000000E924: DBC45000 76000010
	v_mfma_f32_32x32x64_f8f6f4 v[48:63], a[136:143], a[64:71], v[48:63]// 00000000E92C: D3AE0030 1CC28188
	ds_read_b64_tr_b8 a[120:121], v13 offset:3072              // 00000000E934: DBC40C00 7800000D
	ds_read_b64_tr_b8 a[122:123], v14 offset:3072              // 00000000E93C: DBC40C00 7A00000E
	ds_read_b64_tr_b8 a[124:125], v13 offset:21504             // 00000000E944: DBC45400 7C00000D
	ds_read_b64_tr_b8 a[126:127], v14 offset:21504             // 00000000E94C: DBC45400 7E00000E
	ds_read_b64_tr_b8 a[128:129], v15 offset:3072              // 00000000E954: DBC40C00 8000000F
	ds_read_b64_tr_b8 a[130:131], v16 offset:3072              // 00000000E95C: DBC40C00 82000010
	ds_read_b64_tr_b8 a[132:133], v15 offset:21504             // 00000000E964: DBC45400 8400000F
	ds_read_b64_tr_b8 a[134:135], v16 offset:21504             // 00000000E96C: DBC45400 86000010
	s_nop 8                                                    // 00000000E974: BF800008
	s_and_b32 s56, s48, 0xff                                   // 00000000E978: 8638FF30 000000FF
	v_mov_b32_e32 v29, s56                                     // 00000000E980: 7E3A0238
	v_lshrrev_b32_e32 v223, 5, v0                              // 00000000E984: 21BE0085
	v_mul_i32_i24_e32 v223, 4, v223                            // 00000000E988: 0DBFBE84
	v_add_u32_e32 v224, 1, v223                                // 00000000E98C: 69C1BE81
	v_add_u32_e32 v225, 2, v223                                // 00000000E990: 69C3BE82
	v_add_u32_e32 v226, 3, v223                                // 00000000E994: 69C5BE83
	v_mov_b32_e32 v28, 0xff800000                              // 00000000E998: 7E3802FF FF800000
	v_cmp_lt_u32_e64 s[36:37], v223, v29                       // 00000000E9A0: D0C90024 00023BDF
	v_add_u32_e32 v223, 8, v223                                // 00000000E9A8: 69BFBE88
	s_nop 0                                                    // 00000000E9AC: BF800000
	v_cndmask_b32_e64 v32, v28, v32, s[36:37]                  // 00000000E9B0: D1000020 0092411C
	v_cmp_lt_u32_e64 s[36:37], v224, v29                       // 00000000E9B8: D0C90024 00023BE0
	v_add_u32_e32 v224, 8, v224                                // 00000000E9C0: 69C1C088
	s_nop 0                                                    // 00000000E9C4: BF800000
	v_cndmask_b32_e64 v33, v28, v33, s[36:37]                  // 00000000E9C8: D1000021 0092431C
	v_cmp_lt_u32_e64 s[36:37], v225, v29                       // 00000000E9D0: D0C90024 00023BE1
	v_add_u32_e32 v225, 8, v225                                // 00000000E9D8: 69C3C288
	s_nop 0                                                    // 00000000E9DC: BF800000
	v_cndmask_b32_e64 v34, v28, v34, s[36:37]                  // 00000000E9E0: D1000022 0092451C
	v_cmp_lt_u32_e64 s[36:37], v226, v29                       // 00000000E9E8: D0C90024 00023BE2
	v_add_u32_e32 v226, 8, v226                                // 00000000E9F0: 69C5C488
	s_nop 0                                                    // 00000000E9F4: BF800000
	v_cndmask_b32_e64 v35, v28, v35, s[36:37]                  // 00000000E9F8: D1000023 0092471C
	v_cmp_lt_u32_e64 s[36:37], v223, v29                       // 00000000EA00: D0C90024 00023BDF
	v_add_u32_e32 v223, 8, v223                                // 00000000EA08: 69BFBE88
	s_nop 0                                                    // 00000000EA0C: BF800000
	v_cndmask_b32_e64 v36, v28, v36, s[36:37]                  // 00000000EA10: D1000024 0092491C
	v_cmp_lt_u32_e64 s[36:37], v224, v29                       // 00000000EA18: D0C90024 00023BE0
	v_add_u32_e32 v224, 8, v224                                // 00000000EA20: 69C1C088
	s_nop 0                                                    // 00000000EA24: BF800000
	v_cndmask_b32_e64 v37, v28, v37, s[36:37]                  // 00000000EA28: D1000025 00924B1C
	v_cmp_lt_u32_e64 s[36:37], v225, v29                       // 00000000EA30: D0C90024 00023BE1
	v_add_u32_e32 v225, 8, v225                                // 00000000EA38: 69C3C288
	s_nop 0                                                    // 00000000EA3C: BF800000
	v_cndmask_b32_e64 v38, v28, v38, s[36:37]                  // 00000000EA40: D1000026 00924D1C
	v_cmp_lt_u32_e64 s[36:37], v226, v29                       // 00000000EA48: D0C90024 00023BE2
	v_add_u32_e32 v226, 8, v226                                // 00000000EA50: 69C5C488
	s_nop 0                                                    // 00000000EA54: BF800000
	v_cndmask_b32_e64 v39, v28, v39, s[36:37]                  // 00000000EA58: D1000027 00924F1C
	v_cmp_lt_u32_e64 s[36:37], v223, v29                       // 00000000EA60: D0C90024 00023BDF
	v_add_u32_e32 v223, 8, v223                                // 00000000EA68: 69BFBE88
	s_nop 0                                                    // 00000000EA6C: BF800000
	v_cndmask_b32_e64 v40, v28, v40, s[36:37]                  // 00000000EA70: D1000028 0092511C
	v_cmp_lt_u32_e64 s[36:37], v224, v29                       // 00000000EA78: D0C90024 00023BE0
	v_add_u32_e32 v224, 8, v224                                // 00000000EA80: 69C1C088
	s_nop 0                                                    // 00000000EA84: BF800000
	v_cndmask_b32_e64 v41, v28, v41, s[36:37]                  // 00000000EA88: D1000029 0092531C
	v_cmp_lt_u32_e64 s[36:37], v225, v29                       // 00000000EA90: D0C90024 00023BE1
	v_add_u32_e32 v225, 8, v225                                // 00000000EA98: 69C3C288
	s_nop 0                                                    // 00000000EA9C: BF800000
	v_cndmask_b32_e64 v42, v28, v42, s[36:37]                  // 00000000EAA0: D100002A 0092551C
	v_cmp_lt_u32_e64 s[36:37], v226, v29                       // 00000000EAA8: D0C90024 00023BE2
	v_add_u32_e32 v226, 8, v226                                // 00000000EAB0: 69C5C488
	s_nop 0                                                    // 00000000EAB4: BF800000
	v_cndmask_b32_e64 v43, v28, v43, s[36:37]                  // 00000000EAB8: D100002B 0092571C
	v_cmp_lt_u32_e64 s[36:37], v223, v29                       // 00000000EAC0: D0C90024 00023BDF
	v_add_u32_e32 v223, 8, v223                                // 00000000EAC8: 69BFBE88
	s_nop 0                                                    // 00000000EACC: BF800000
	v_cndmask_b32_e64 v44, v28, v44, s[36:37]                  // 00000000EAD0: D100002C 0092591C
	v_cmp_lt_u32_e64 s[36:37], v224, v29                       // 00000000EAD8: D0C90024 00023BE0
	v_add_u32_e32 v224, 8, v224                                // 00000000EAE0: 69C1C088
	s_nop 0                                                    // 00000000EAE4: BF800000
	v_cndmask_b32_e64 v45, v28, v45, s[36:37]                  // 00000000EAE8: D100002D 00925B1C
	v_cmp_lt_u32_e64 s[36:37], v225, v29                       // 00000000EAF0: D0C90024 00023BE1
	v_add_u32_e32 v225, 8, v225                                // 00000000EAF8: 69C3C288
	s_nop 0                                                    // 00000000EAFC: BF800000
	v_cndmask_b32_e64 v46, v28, v46, s[36:37]                  // 00000000EB00: D100002E 00925D1C
	v_cmp_lt_u32_e64 s[36:37], v226, v29                       // 00000000EB08: D0C90024 00023BE2
	v_add_u32_e32 v226, 8, v226                                // 00000000EB10: 69C5C488
	s_nop 0                                                    // 00000000EB14: BF800000
	v_cndmask_b32_e64 v47, v28, v47, s[36:37]                  // 00000000EB18: D100002F 00925F1C
	v_cmp_lt_u32_e64 s[36:37], v223, v29                       // 00000000EB20: D0C90024 00023BDF
	v_add_u32_e32 v223, 8, v223                                // 00000000EB28: 69BFBE88
	s_nop 0                                                    // 00000000EB2C: BF800000
	v_cndmask_b32_e64 v48, v28, v48, s[36:37]                  // 00000000EB30: D1000030 0092611C
	v_cmp_lt_u32_e64 s[36:37], v224, v29                       // 00000000EB38: D0C90024 00023BE0
	v_add_u32_e32 v224, 8, v224                                // 00000000EB40: 69C1C088
	s_nop 0                                                    // 00000000EB44: BF800000
	v_cndmask_b32_e64 v49, v28, v49, s[36:37]                  // 00000000EB48: D1000031 0092631C
	v_cmp_lt_u32_e64 s[36:37], v225, v29                       // 00000000EB50: D0C90024 00023BE1
	v_add_u32_e32 v225, 8, v225                                // 00000000EB58: 69C3C288
	s_nop 0                                                    // 00000000EB5C: BF800000
	v_cndmask_b32_e64 v50, v28, v50, s[36:37]                  // 00000000EB60: D1000032 0092651C
	v_cmp_lt_u32_e64 s[36:37], v226, v29                       // 00000000EB68: D0C90024 00023BE2
	v_add_u32_e32 v226, 8, v226                                // 00000000EB70: 69C5C488
	s_nop 0                                                    // 00000000EB74: BF800000
	v_cndmask_b32_e64 v51, v28, v51, s[36:37]                  // 00000000EB78: D1000033 0092671C
	v_cmp_lt_u32_e64 s[36:37], v223, v29                       // 00000000EB80: D0C90024 00023BDF
	v_add_u32_e32 v223, 8, v223                                // 00000000EB88: 69BFBE88
	s_nop 0                                                    // 00000000EB8C: BF800000
	v_cndmask_b32_e64 v52, v28, v52, s[36:37]                  // 00000000EB90: D1000034 0092691C
	v_cmp_lt_u32_e64 s[36:37], v224, v29                       // 00000000EB98: D0C90024 00023BE0
	v_add_u32_e32 v224, 8, v224                                // 00000000EBA0: 69C1C088
	s_nop 0                                                    // 00000000EBA4: BF800000
	v_cndmask_b32_e64 v53, v28, v53, s[36:37]                  // 00000000EBA8: D1000035 00926B1C
	v_cmp_lt_u32_e64 s[36:37], v225, v29                       // 00000000EBB0: D0C90024 00023BE1
	v_add_u32_e32 v225, 8, v225                                // 00000000EBB8: 69C3C288
	s_nop 0                                                    // 00000000EBBC: BF800000
	v_cndmask_b32_e64 v54, v28, v54, s[36:37]                  // 00000000EBC0: D1000036 00926D1C
	v_cmp_lt_u32_e64 s[36:37], v226, v29                       // 00000000EBC8: D0C90024 00023BE2
	v_add_u32_e32 v226, 8, v226                                // 00000000EBD0: 69C5C488
	s_nop 0                                                    // 00000000EBD4: BF800000
	v_cndmask_b32_e64 v55, v28, v55, s[36:37]                  // 00000000EBD8: D1000037 00926F1C
	v_cmp_lt_u32_e64 s[36:37], v223, v29                       // 00000000EBE0: D0C90024 00023BDF
	v_add_u32_e32 v223, 8, v223                                // 00000000EBE8: 69BFBE88
	s_nop 0                                                    // 00000000EBEC: BF800000
	v_cndmask_b32_e64 v56, v28, v56, s[36:37]                  // 00000000EBF0: D1000038 0092711C
	v_cmp_lt_u32_e64 s[36:37], v224, v29                       // 00000000EBF8: D0C90024 00023BE0
	v_add_u32_e32 v224, 8, v224                                // 00000000EC00: 69C1C088
	s_nop 0                                                    // 00000000EC04: BF800000
	v_cndmask_b32_e64 v57, v28, v57, s[36:37]                  // 00000000EC08: D1000039 0092731C
	v_cmp_lt_u32_e64 s[36:37], v225, v29                       // 00000000EC10: D0C90024 00023BE1
	v_add_u32_e32 v225, 8, v225                                // 00000000EC18: 69C3C288
	s_nop 0                                                    // 00000000EC1C: BF800000
	v_cndmask_b32_e64 v58, v28, v58, s[36:37]                  // 00000000EC20: D100003A 0092751C
	v_cmp_lt_u32_e64 s[36:37], v226, v29                       // 00000000EC28: D0C90024 00023BE2
	v_add_u32_e32 v226, 8, v226                                // 00000000EC30: 69C5C488
	s_nop 0                                                    // 00000000EC34: BF800000
	v_cndmask_b32_e64 v59, v28, v59, s[36:37]                  // 00000000EC38: D100003B 0092771C
	v_cmp_lt_u32_e64 s[36:37], v223, v29                       // 00000000EC40: D0C90024 00023BDF
	v_add_u32_e32 v223, 8, v223                                // 00000000EC48: 69BFBE88
	s_nop 0                                                    // 00000000EC4C: BF800000
	v_cndmask_b32_e64 v60, v28, v60, s[36:37]                  // 00000000EC50: D100003C 0092791C
	v_cmp_lt_u32_e64 s[36:37], v224, v29                       // 00000000EC58: D0C90024 00023BE0
	v_add_u32_e32 v224, 8, v224                                // 00000000EC60: 69C1C088
	s_nop 0                                                    // 00000000EC64: BF800000
	v_cndmask_b32_e64 v61, v28, v61, s[36:37]                  // 00000000EC68: D100003D 00927B1C
	v_cmp_lt_u32_e64 s[36:37], v225, v29                       // 00000000EC70: D0C90024 00023BE1
	v_add_u32_e32 v225, 8, v225                                // 00000000EC78: 69C3C288
	s_nop 0                                                    // 00000000EC7C: BF800000
	v_cndmask_b32_e64 v62, v28, v62, s[36:37]                  // 00000000EC80: D100003E 00927D1C
	v_cmp_lt_u32_e64 s[36:37], v226, v29                       // 00000000EC88: D0C90024 00023BE2
	v_add_u32_e32 v226, 8, v226                                // 00000000EC90: 69C5C488
	s_nop 0                                                    // 00000000EC94: BF800000
	v_cndmask_b32_e64 v63, v28, v63, s[36:37]                  // 00000000EC98: D100003F 00927F1C
	s_cmp_le_i32 s83, s82                                      // 00000000ECA0: BF055253
	s_cbranch_scc1 label_CCF8                                  // 00000000ECA4: BF8500D4
	v_mov_b32_e32 v28, s82                                     // 00000000ECA8: 7E380252
	s_cmp_eq_i32 s81, 1                                        // 00000000ECAC: BF008151
	s_cbranch_scc1 label_C9D4                                  // 00000000ECB0: BF850008
	s_cmp_eq_i32 s81, 2                                        // 00000000ECB4: BF008251
	s_cbranch_scc1 label_C9C8                                  // 00000000ECB8: BF850003
	v_add_i32 v28, s7, v28                                     // 00000000ECBC: D29C001C 00023807
	s_branch label_C9D4                                        // 00000000ECC4: BF820003

000000000000ecc8 <label_C9C8>:
	s_lshr_b32 s56, s7, 1                                      // 00000000ECC8: 8F388107
	v_add_u32_e32 v28, s56, v28                                // 00000000ECCC: 68383838
	s_branch label_C9D4                                        // 00000000ECD0: BF820000

000000000000ecd4 <label_C9D4>:
	s_sub_u32 s56, s83, 63                                     // 00000000ECD4: 80B8BF53
	v_lshrrev_b32_e32 v223, 5, v0                              // 00000000ECD8: 21BE0085
	v_mul_i32_i24_e32 v223, 4, v223                            // 00000000ECDC: 0DBFBE84
	v_add_u32_e32 v223, s56, v223                              // 00000000ECE0: 69BFBE38
	v_add_u32_e32 v224, 1, v223                                // 00000000ECE4: 69C1BE81
	v_add_u32_e32 v225, 2, v223                                // 00000000ECE8: 69C3BE82
	v_add_u32_e32 v226, 3, v223                                // 00000000ECEC: 69C5BE83
	v_mov_b32_e32 v31, 0xff800000                              // 00000000ECF0: 7E3E02FF FF800000
	v_cmp_le_i32_e64 s[36:37], v223, v28                       // 00000000ECF8: D0C30024 000239DF
	s_nop 0                                                    // 00000000ED00: BF800000
	v_cndmask_b32_e64 v32, v31, v32, s[36:37]                  // 00000000ED04: D1000020 0092411F
	v_add_u32_e32 v223, 8, v223                                // 00000000ED0C: 69BFBE88
	v_cmp_le_i32_e64 s[36:37], v224, v28                       // 00000000ED10: D0C30024 000239E0
	s_nop 0                                                    // 00000000ED18: BF800000
	v_cndmask_b32_e64 v33, v31, v33, s[36:37]                  // 00000000ED1C: D1000021 0092431F
	v_add_u32_e32 v224, 8, v224                                // 00000000ED24: 69C1C088
	v_cmp_le_i32_e64 s[36:37], v225, v28                       // 00000000ED28: D0C30024 000239E1
	s_nop 0                                                    // 00000000ED30: BF800000
	v_cndmask_b32_e64 v34, v31, v34, s[36:37]                  // 00000000ED34: D1000022 0092451F
	v_add_u32_e32 v225, 8, v225                                // 00000000ED3C: 69C3C288
	v_cmp_le_i32_e64 s[36:37], v226, v28                       // 00000000ED40: D0C30024 000239E2
	s_nop 0                                                    // 00000000ED48: BF800000
	v_cndmask_b32_e64 v35, v31, v35, s[36:37]                  // 00000000ED4C: D1000023 0092471F
	v_add_u32_e32 v226, 8, v226                                // 00000000ED54: 69C5C488
	v_cmp_le_i32_e64 s[36:37], v223, v28                       // 00000000ED58: D0C30024 000239DF
	s_nop 0                                                    // 00000000ED60: BF800000
	v_cndmask_b32_e64 v36, v31, v36, s[36:37]                  // 00000000ED64: D1000024 0092491F
	v_add_u32_e32 v223, 8, v223                                // 00000000ED6C: 69BFBE88
	v_cmp_le_i32_e64 s[36:37], v224, v28                       // 00000000ED70: D0C30024 000239E0
	s_nop 0                                                    // 00000000ED78: BF800000
	v_cndmask_b32_e64 v37, v31, v37, s[36:37]                  // 00000000ED7C: D1000025 00924B1F
	v_add_u32_e32 v224, 8, v224                                // 00000000ED84: 69C1C088
	v_cmp_le_i32_e64 s[36:37], v225, v28                       // 00000000ED88: D0C30024 000239E1
	s_nop 0                                                    // 00000000ED90: BF800000
	v_cndmask_b32_e64 v38, v31, v38, s[36:37]                  // 00000000ED94: D1000026 00924D1F
	v_add_u32_e32 v225, 8, v225                                // 00000000ED9C: 69C3C288
	v_cmp_le_i32_e64 s[36:37], v226, v28                       // 00000000EDA0: D0C30024 000239E2
	s_nop 0                                                    // 00000000EDA8: BF800000
	v_cndmask_b32_e64 v39, v31, v39, s[36:37]                  // 00000000EDAC: D1000027 00924F1F
	v_add_u32_e32 v226, 8, v226                                // 00000000EDB4: 69C5C488
	v_cmp_le_i32_e64 s[36:37], v223, v28                       // 00000000EDB8: D0C30024 000239DF
	s_nop 0                                                    // 00000000EDC0: BF800000
	v_cndmask_b32_e64 v40, v31, v40, s[36:37]                  // 00000000EDC4: D1000028 0092511F
	v_add_u32_e32 v223, 8, v223                                // 00000000EDCC: 69BFBE88
	v_cmp_le_i32_e64 s[36:37], v224, v28                       // 00000000EDD0: D0C30024 000239E0
	s_nop 0                                                    // 00000000EDD8: BF800000
	v_cndmask_b32_e64 v41, v31, v41, s[36:37]                  // 00000000EDDC: D1000029 0092531F
	v_add_u32_e32 v224, 8, v224                                // 00000000EDE4: 69C1C088
	v_cmp_le_i32_e64 s[36:37], v225, v28                       // 00000000EDE8: D0C30024 000239E1
	s_nop 0                                                    // 00000000EDF0: BF800000
	v_cndmask_b32_e64 v42, v31, v42, s[36:37]                  // 00000000EDF4: D100002A 0092551F
	v_add_u32_e32 v225, 8, v225                                // 00000000EDFC: 69C3C288
	v_cmp_le_i32_e64 s[36:37], v226, v28                       // 00000000EE00: D0C30024 000239E2
	s_nop 0                                                    // 00000000EE08: BF800000
	v_cndmask_b32_e64 v43, v31, v43, s[36:37]                  // 00000000EE0C: D100002B 0092571F
	v_add_u32_e32 v226, 8, v226                                // 00000000EE14: 69C5C488
	v_cmp_le_i32_e64 s[36:37], v223, v28                       // 00000000EE18: D0C30024 000239DF
	s_nop 0                                                    // 00000000EE20: BF800000
	v_cndmask_b32_e64 v44, v31, v44, s[36:37]                  // 00000000EE24: D100002C 0092591F
	v_add_u32_e32 v223, 8, v223                                // 00000000EE2C: 69BFBE88
	v_cmp_le_i32_e64 s[36:37], v224, v28                       // 00000000EE30: D0C30024 000239E0
	s_nop 0                                                    // 00000000EE38: BF800000
	v_cndmask_b32_e64 v45, v31, v45, s[36:37]                  // 00000000EE3C: D100002D 00925B1F
	v_add_u32_e32 v224, 8, v224                                // 00000000EE44: 69C1C088
	v_cmp_le_i32_e64 s[36:37], v225, v28                       // 00000000EE48: D0C30024 000239E1
	s_nop 0                                                    // 00000000EE50: BF800000
	v_cndmask_b32_e64 v46, v31, v46, s[36:37]                  // 00000000EE54: D100002E 00925D1F
	v_add_u32_e32 v225, 8, v225                                // 00000000EE5C: 69C3C288
	v_cmp_le_i32_e64 s[36:37], v226, v28                       // 00000000EE60: D0C30024 000239E2
	s_nop 0                                                    // 00000000EE68: BF800000
	v_cndmask_b32_e64 v47, v31, v47, s[36:37]                  // 00000000EE6C: D100002F 00925F1F
	v_add_u32_e32 v226, 8, v226                                // 00000000EE74: 69C5C488
	v_cmp_le_i32_e64 s[36:37], v223, v28                       // 00000000EE78: D0C30024 000239DF
	s_nop 0                                                    // 00000000EE80: BF800000
	v_cndmask_b32_e64 v48, v31, v48, s[36:37]                  // 00000000EE84: D1000030 0092611F
	v_add_u32_e32 v223, 8, v223                                // 00000000EE8C: 69BFBE88
	v_cmp_le_i32_e64 s[36:37], v224, v28                       // 00000000EE90: D0C30024 000239E0
	s_nop 0                                                    // 00000000EE98: BF800000
	v_cndmask_b32_e64 v49, v31, v49, s[36:37]                  // 00000000EE9C: D1000031 0092631F
	v_add_u32_e32 v224, 8, v224                                // 00000000EEA4: 69C1C088
	v_cmp_le_i32_e64 s[36:37], v225, v28                       // 00000000EEA8: D0C30024 000239E1
	s_nop 0                                                    // 00000000EEB0: BF800000
	v_cndmask_b32_e64 v50, v31, v50, s[36:37]                  // 00000000EEB4: D1000032 0092651F
	v_add_u32_e32 v225, 8, v225                                // 00000000EEBC: 69C3C288
	v_cmp_le_i32_e64 s[36:37], v226, v28                       // 00000000EEC0: D0C30024 000239E2
	s_nop 0                                                    // 00000000EEC8: BF800000
	v_cndmask_b32_e64 v51, v31, v51, s[36:37]                  // 00000000EECC: D1000033 0092671F
	v_add_u32_e32 v226, 8, v226                                // 00000000EED4: 69C5C488
	v_cmp_le_i32_e64 s[36:37], v223, v28                       // 00000000EED8: D0C30024 000239DF
	s_nop 0                                                    // 00000000EEE0: BF800000
	v_cndmask_b32_e64 v52, v31, v52, s[36:37]                  // 00000000EEE4: D1000034 0092691F
	v_add_u32_e32 v223, 8, v223                                // 00000000EEEC: 69BFBE88
	v_cmp_le_i32_e64 s[36:37], v224, v28                       // 00000000EEF0: D0C30024 000239E0
	s_nop 0                                                    // 00000000EEF8: BF800000
	v_cndmask_b32_e64 v53, v31, v53, s[36:37]                  // 00000000EEFC: D1000035 00926B1F
	v_add_u32_e32 v224, 8, v224                                // 00000000EF04: 69C1C088
	v_cmp_le_i32_e64 s[36:37], v225, v28                       // 00000000EF08: D0C30024 000239E1
	s_nop 0                                                    // 00000000EF10: BF800000
	v_cndmask_b32_e64 v54, v31, v54, s[36:37]                  // 00000000EF14: D1000036 00926D1F
	v_add_u32_e32 v225, 8, v225                                // 00000000EF1C: 69C3C288
	v_cmp_le_i32_e64 s[36:37], v226, v28                       // 00000000EF20: D0C30024 000239E2
	s_nop 0                                                    // 00000000EF28: BF800000
	v_cndmask_b32_e64 v55, v31, v55, s[36:37]                  // 00000000EF2C: D1000037 00926F1F
	v_add_u32_e32 v226, 8, v226                                // 00000000EF34: 69C5C488
	v_cmp_le_i32_e64 s[36:37], v223, v28                       // 00000000EF38: D0C30024 000239DF
	s_nop 0                                                    // 00000000EF40: BF800000
	v_cndmask_b32_e64 v56, v31, v56, s[36:37]                  // 00000000EF44: D1000038 0092711F
	v_add_u32_e32 v223, 8, v223                                // 00000000EF4C: 69BFBE88
	v_cmp_le_i32_e64 s[36:37], v224, v28                       // 00000000EF50: D0C30024 000239E0
	s_nop 0                                                    // 00000000EF58: BF800000
	v_cndmask_b32_e64 v57, v31, v57, s[36:37]                  // 00000000EF5C: D1000039 0092731F
	v_add_u32_e32 v224, 8, v224                                // 00000000EF64: 69C1C088
	v_cmp_le_i32_e64 s[36:37], v225, v28                       // 00000000EF68: D0C30024 000239E1
	s_nop 0                                                    // 00000000EF70: BF800000
	v_cndmask_b32_e64 v58, v31, v58, s[36:37]                  // 00000000EF74: D100003A 0092751F
	v_add_u32_e32 v225, 8, v225                                // 00000000EF7C: 69C3C288
	v_cmp_le_i32_e64 s[36:37], v226, v28                       // 00000000EF80: D0C30024 000239E2
	s_nop 0                                                    // 00000000EF88: BF800000
	v_cndmask_b32_e64 v59, v31, v59, s[36:37]                  // 00000000EF8C: D100003B 0092771F
	v_add_u32_e32 v226, 8, v226                                // 00000000EF94: 69C5C488
	v_cmp_le_i32_e64 s[36:37], v223, v28                       // 00000000EF98: D0C30024 000239DF
	s_nop 0                                                    // 00000000EFA0: BF800000
	v_cndmask_b32_e64 v60, v31, v60, s[36:37]                  // 00000000EFA4: D100003C 0092791F
	v_add_u32_e32 v223, 8, v223                                // 00000000EFAC: 69BFBE88
	v_cmp_le_i32_e64 s[36:37], v224, v28                       // 00000000EFB0: D0C30024 000239E0
	s_nop 0                                                    // 00000000EFB8: BF800000
	v_cndmask_b32_e64 v61, v31, v61, s[36:37]                  // 00000000EFBC: D100003D 00927B1F
	v_add_u32_e32 v224, 8, v224                                // 00000000EFC4: 69C1C088
	v_cmp_le_i32_e64 s[36:37], v225, v28                       // 00000000EFC8: D0C30024 000239E1
	s_nop 0                                                    // 00000000EFD0: BF800000
	v_cndmask_b32_e64 v62, v31, v62, s[36:37]                  // 00000000EFD4: D100003E 00927D1F
	v_add_u32_e32 v225, 8, v225                                // 00000000EFDC: 69C3C288
	v_cmp_le_i32_e64 s[36:37], v226, v28                       // 00000000EFE0: D0C30024 000239E2
	s_nop 0                                                    // 00000000EFE8: BF800000
	v_cndmask_b32_e64 v63, v31, v63, s[36:37]                  // 00000000EFEC: D100003F 00927F1F
	v_add_u32_e32 v226, 8, v226                                // 00000000EFF4: 69C5C488

000000000000eff8 <label_CCF8>:
	s_add_u32 s83, s84, s83                                    // 00000000EFF8: 80535354
	s_nop 2                                                    // 00000000EFFC: BF800002
	v_mov_b32_e32 v29, v32                                     // 00000000F000: 7E3A0320
	v_max3_f32 v29, v32, v33, v29                              // 00000000F004: D1D3001D 04764320
	v_max3_f32 v29, v34, v35, v29                              // 00000000F00C: D1D3001D 04764722
	v_max3_f32 v29, v36, v37, v29                              // 00000000F014: D1D3001D 04764B24
	v_max3_f32 v29, v38, v39, v29                              // 00000000F01C: D1D3001D 04764F26
	v_max3_f32 v29, v40, v41, v29                              // 00000000F024: D1D3001D 04765328
	v_max3_f32 v29, v42, v43, v29                              // 00000000F02C: D1D3001D 0476572A
	v_max3_f32 v29, v44, v45, v29                              // 00000000F034: D1D3001D 04765B2C
	v_max3_f32 v29, v46, v47, v29                              // 00000000F03C: D1D3001D 04765F2E
	v_max3_f32 v29, v48, v49, v29                              // 00000000F044: D1D3001D 04766330
	v_max3_f32 v29, v50, v51, v29                              // 00000000F04C: D1D3001D 04766732
	v_max3_f32 v29, v52, v53, v29                              // 00000000F054: D1D3001D 04766B34
	v_max3_f32 v29, v54, v55, v29                              // 00000000F05C: D1D3001D 04766F36
	v_max3_f32 v29, v56, v57, v29                              // 00000000F064: D1D3001D 04767338
	v_max3_f32 v29, v58, v59, v29                              // 00000000F06C: D1D3001D 0476773A
	v_max3_f32 v29, v60, v61, v29                              // 00000000F074: D1D3001D 04767B3C
	v_max3_f32 v29, v62, v63, v29                              // 00000000F07C: D1D3001D 04767F3E
	v_mov_b32_e32 v28, v29                                     // 00000000F084: 7E38031D
	v_mov_b32_e32 v29, v29                                     // 00000000F088: 7E3A031D
	s_nop 1                                                    // 00000000F08C: BF800001
	v_permlane32_swap_b32_e32 v28, v29                         // 00000000F090: 7E38B51D
	v_max3_f32 v29, v28, v29, v29                              // 00000000F094: D1D3001D 04763B1C
	v_mov_b32_e32 v28, 0xff800000                              // 00000000F09C: 7E3802FF FF800000
	v_cmp_eq_u32_e64 s[36:37], v28, v2                         // 00000000F0A4: D0CA0024 0002051C
	v_max_f32_e32 v29, v29, v2                                 // 00000000F0AC: 163A051D
	v_sub_f32_e32 v17, v2, v29                                 // 00000000F0B0: 04223B02
	v_cndmask_b32_e64 v17, v17, 0, s[36:37]                    // 00000000F0B4: D1000011 00910111
	v_mov_b32_e32 v2, v29                                      // 00000000F0BC: 7E04031D
	v_mul_f32_e32 v29, s5, v29                                 // 00000000F0C0: 0A3A3A05
	v_mul_f32_e32 v17, s5, v17                                 // 00000000F0C4: 0A222205
	v_exp_f32_e32 v17, v17                                     // 00000000F0C8: 7E224111
	v_fma_f32 v32, v32, s5, -v29                               // 00000000F0CC: D1CB0020 84740B20
	v_fma_f32 v33, v33, s5, -v29                               // 00000000F0D4: D1CB0021 84740B21
	v_fma_f32 v34, v34, s5, -v29                               // 00000000F0DC: D1CB0022 84740B22
	v_fma_f32 v35, v35, s5, -v29                               // 00000000F0E4: D1CB0023 84740B23
	v_fma_f32 v36, v36, s5, -v29                               // 00000000F0EC: D1CB0024 84740B24
	v_fma_f32 v37, v37, s5, -v29                               // 00000000F0F4: D1CB0025 84740B25
	v_fma_f32 v38, v38, s5, -v29                               // 00000000F0FC: D1CB0026 84740B26
	v_fma_f32 v39, v39, s5, -v29                               // 00000000F104: D1CB0027 84740B27
	v_fma_f32 v40, v40, s5, -v29                               // 00000000F10C: D1CB0028 84740B28
	v_fma_f32 v41, v41, s5, -v29                               // 00000000F114: D1CB0029 84740B29
	v_fma_f32 v42, v42, s5, -v29                               // 00000000F11C: D1CB002A 84740B2A
	v_fma_f32 v43, v43, s5, -v29                               // 00000000F124: D1CB002B 84740B2B
	v_fma_f32 v44, v44, s5, -v29                               // 00000000F12C: D1CB002C 84740B2C
	v_fma_f32 v45, v45, s5, -v29                               // 00000000F134: D1CB002D 84740B2D
	v_fma_f32 v46, v46, s5, -v29                               // 00000000F13C: D1CB002E 84740B2E
	v_fma_f32 v47, v47, s5, -v29                               // 00000000F144: D1CB002F 84740B2F
	v_fma_f32 v48, v48, s5, -v29                               // 00000000F14C: D1CB0030 84740B30
	v_fma_f32 v49, v49, s5, -v29                               // 00000000F154: D1CB0031 84740B31
	v_fma_f32 v50, v50, s5, -v29                               // 00000000F15C: D1CB0032 84740B32
	v_fma_f32 v51, v51, s5, -v29                               // 00000000F164: D1CB0033 84740B33
	v_fma_f32 v52, v52, s5, -v29                               // 00000000F16C: D1CB0034 84740B34
	v_fma_f32 v53, v53, s5, -v29                               // 00000000F174: D1CB0035 84740B35
	v_fma_f32 v54, v54, s5, -v29                               // 00000000F17C: D1CB0036 84740B36
	v_fma_f32 v55, v55, s5, -v29                               // 00000000F184: D1CB0037 84740B37
	v_fma_f32 v56, v56, s5, -v29                               // 00000000F18C: D1CB0038 84740B38
	v_fma_f32 v57, v57, s5, -v29                               // 00000000F194: D1CB0039 84740B39
	v_fma_f32 v58, v58, s5, -v29                               // 00000000F19C: D1CB003A 84740B3A
	v_fma_f32 v59, v59, s5, -v29                               // 00000000F1A4: D1CB003B 84740B3B
	v_fma_f32 v60, v60, s5, -v29                               // 00000000F1AC: D1CB003C 84740B3C
	v_fma_f32 v61, v61, s5, -v29                               // 00000000F1B4: D1CB003D 84740B3D
	v_fma_f32 v62, v62, s5, -v29                               // 00000000F1BC: D1CB003E 84740B3E
	v_fma_f32 v63, v63, s5, -v29                               // 00000000F1C4: D1CB003F 84740B3F
	v_exp_f32_e32 v32, v32                                     // 00000000F1CC: 7E404120
	v_exp_f32_e32 v33, v33                                     // 00000000F1D0: 7E424121
	v_exp_f32_e32 v34, v34                                     // 00000000F1D4: 7E444122
	v_exp_f32_e32 v35, v35                                     // 00000000F1D8: 7E464123
	v_exp_f32_e32 v36, v36                                     // 00000000F1DC: 7E484124
	v_exp_f32_e32 v37, v37                                     // 00000000F1E0: 7E4A4125
	v_exp_f32_e32 v38, v38                                     // 00000000F1E4: 7E4C4126
	v_exp_f32_e32 v39, v39                                     // 00000000F1E8: 7E4E4127
	v_exp_f32_e32 v40, v40                                     // 00000000F1EC: 7E504128
	v_exp_f32_e32 v41, v41                                     // 00000000F1F0: 7E524129
	v_exp_f32_e32 v42, v42                                     // 00000000F1F4: 7E54412A
	v_exp_f32_e32 v43, v43                                     // 00000000F1F8: 7E56412B
	v_exp_f32_e32 v44, v44                                     // 00000000F1FC: 7E58412C
	v_exp_f32_e32 v45, v45                                     // 00000000F200: 7E5A412D
	v_exp_f32_e32 v46, v46                                     // 00000000F204: 7E5C412E
	v_exp_f32_e32 v47, v47                                     // 00000000F208: 7E5E412F
	v_exp_f32_e32 v48, v48                                     // 00000000F20C: 7E604130
	v_exp_f32_e32 v49, v49                                     // 00000000F210: 7E624131
	v_exp_f32_e32 v50, v50                                     // 00000000F214: 7E644132
	v_exp_f32_e32 v51, v51                                     // 00000000F218: 7E664133
	v_exp_f32_e32 v52, v52                                     // 00000000F21C: 7E684134
	v_exp_f32_e32 v53, v53                                     // 00000000F220: 7E6A4135
	v_exp_f32_e32 v54, v54                                     // 00000000F224: 7E6C4136
	v_exp_f32_e32 v55, v55                                     // 00000000F228: 7E6E4137
	v_exp_f32_e32 v56, v56                                     // 00000000F22C: 7E704138
	v_exp_f32_e32 v57, v57                                     // 00000000F230: 7E724139
	v_exp_f32_e32 v58, v58                                     // 00000000F234: 7E74413A
	v_exp_f32_e32 v59, v59                                     // 00000000F238: 7E76413B
	v_exp_f32_e32 v60, v60                                     // 00000000F23C: 7E78413C
	v_exp_f32_e32 v61, v61                                     // 00000000F240: 7E7A413D
	v_exp_f32_e32 v62, v62                                     // 00000000F244: 7E7C413E
	v_exp_f32_e32 v63, v63                                     // 00000000F248: 7E7E413F
	v_mul_f32_e32 v4, v17, v4                                  // 00000000F24C: 0A080911
	v_mov_b32_e32 v28, v32                                     // 00000000F250: 7E380320
	v_add_f32_e32 v28, v33, v28                                // 00000000F254: 02383921
	v_add_f32_e32 v28, v34, v28                                // 00000000F258: 02383922
	v_add_f32_e32 v28, v35, v28                                // 00000000F25C: 02383923
	v_add_f32_e32 v28, v36, v28                                // 00000000F260: 02383924
	v_add_f32_e32 v28, v37, v28                                // 00000000F264: 02383925
	v_add_f32_e32 v28, v38, v28                                // 00000000F268: 02383926
	v_add_f32_e32 v28, v39, v28                                // 00000000F26C: 02383927
	v_add_f32_e32 v28, v40, v28                                // 00000000F270: 02383928
	v_add_f32_e32 v28, v41, v28                                // 00000000F274: 02383929
	v_add_f32_e32 v28, v42, v28                                // 00000000F278: 0238392A
	v_add_f32_e32 v28, v43, v28                                // 00000000F27C: 0238392B
	v_add_f32_e32 v28, v44, v28                                // 00000000F280: 0238392C
	v_add_f32_e32 v28, v45, v28                                // 00000000F284: 0238392D
	v_add_f32_e32 v28, v46, v28                                // 00000000F288: 0238392E
	v_add_f32_e32 v28, v47, v28                                // 00000000F28C: 0238392F
	v_add_f32_e32 v28, v48, v28                                // 00000000F290: 02383930
	v_add_f32_e32 v28, v49, v28                                // 00000000F294: 02383931
	v_add_f32_e32 v28, v50, v28                                // 00000000F298: 02383932
	v_add_f32_e32 v28, v51, v28                                // 00000000F29C: 02383933
	v_add_f32_e32 v28, v52, v28                                // 00000000F2A0: 02383934
	v_add_f32_e32 v28, v53, v28                                // 00000000F2A4: 02383935
	v_add_f32_e32 v28, v54, v28                                // 00000000F2A8: 02383936
	v_add_f32_e32 v28, v55, v28                                // 00000000F2AC: 02383937
	v_add_f32_e32 v28, v56, v28                                // 00000000F2B0: 02383938
	v_add_f32_e32 v28, v57, v28                                // 00000000F2B4: 02383939
	v_add_f32_e32 v28, v58, v28                                // 00000000F2B8: 0238393A
	v_add_f32_e32 v28, v59, v28                                // 00000000F2BC: 0238393B
	v_add_f32_e32 v28, v60, v28                                // 00000000F2C0: 0238393C
	v_add_f32_e32 v28, v61, v28                                // 00000000F2C4: 0238393D
	v_add_f32_e32 v28, v62, v28                                // 00000000F2C8: 0238393E
	v_add_f32_e32 v28, v63, v28                                // 00000000F2CC: 0238393F
	v_add_f32_e32 v4, v28, v4                                  // 00000000F2D0: 0208091C
	v_cvt_pk_fp8_f32 v32, v32, v33                             // 00000000F2D4: D2A20020 00024320
	v_cvt_pk_fp8_f32 v32, v34, v35 op_sel:[0,0,1]              // 00000000F2DC: D2A24020 00024722
	v_cvt_pk_fp8_f32 v33, v36, v37                             // 00000000F2E4: D2A20021 00024B24
	v_cvt_pk_fp8_f32 v33, v38, v39 op_sel:[0,0,1]              // 00000000F2EC: D2A24021 00024F26
	v_cvt_pk_fp8_f32 v34, v40, v41                             // 00000000F2F4: D2A20022 00025328
	v_cvt_pk_fp8_f32 v34, v42, v43 op_sel:[0,0,1]              // 00000000F2FC: D2A24022 0002572A
	v_cvt_pk_fp8_f32 v35, v44, v45                             // 00000000F304: D2A20023 00025B2C
	v_cvt_pk_fp8_f32 v35, v46, v47 op_sel:[0,0,1]              // 00000000F30C: D2A24023 00025F2E
	v_cvt_pk_fp8_f32 v36, v48, v49                             // 00000000F314: D2A20024 00026330
	v_cvt_pk_fp8_f32 v36, v50, v51 op_sel:[0,0,1]              // 00000000F31C: D2A24024 00026732
	v_cvt_pk_fp8_f32 v37, v52, v53                             // 00000000F324: D2A20025 00026B34
	v_cvt_pk_fp8_f32 v37, v54, v55 op_sel:[0,0,1]              // 00000000F32C: D2A24025 00026F36
	v_cvt_pk_fp8_f32 v38, v56, v57                             // 00000000F334: D2A20026 00027338
	v_cvt_pk_fp8_f32 v38, v58, v59 op_sel:[0,0,1]              // 00000000F33C: D2A24026 0002773A
	v_cvt_pk_fp8_f32 v39, v60, v61                             // 00000000F344: D2A20027 00027B3C
	v_cvt_pk_fp8_f32 v39, v62, v63 op_sel:[0,0,1]              // 00000000F34C: D2A24027 00027F3E
	v_permlane32_swap_b32_e32 v32, v34                         // 00000000F354: 7E40B522
	v_permlane32_swap_b32_e32 v33, v35                         // 00000000F358: 7E42B523
	v_swap_b32 v33, v34                                        // 00000000F35C: 7E42A322
	v_permlane32_swap_b32_e32 v36, v38                         // 00000000F360: 7E48B526
	v_permlane32_swap_b32_e32 v37, v39                         // 00000000F364: 7E4AB527
	v_swap_b32 v37, v38                                        // 00000000F368: 7E4AA326
	v_mov_b32_e32 v28, v17                                     // 00000000F36C: 7E380311
	v_mul_f32_e32 v64, v28, v64                                // 00000000F370: 0A80811C
	v_mul_f32_e32 v65, v28, v65                                // 00000000F374: 0A82831C
	v_mul_f32_e32 v66, v28, v66                                // 00000000F378: 0A84851C
	v_mul_f32_e32 v67, v28, v67                                // 00000000F37C: 0A86871C
	v_mul_f32_e32 v68, v28, v68                                // 00000000F380: 0A88891C
	v_mul_f32_e32 v69, v28, v69                                // 00000000F384: 0A8A8B1C
	v_mul_f32_e32 v70, v28, v70                                // 00000000F388: 0A8C8D1C
	v_mul_f32_e32 v71, v28, v71                                // 00000000F38C: 0A8E8F1C
	v_mul_f32_e32 v72, v28, v72                                // 00000000F390: 0A90911C
	v_mul_f32_e32 v73, v28, v73                                // 00000000F394: 0A92931C
	v_mul_f32_e32 v74, v28, v74                                // 00000000F398: 0A94951C
	v_mul_f32_e32 v75, v28, v75                                // 00000000F39C: 0A96971C
	v_mul_f32_e32 v76, v28, v76                                // 00000000F3A0: 0A98991C
	v_mul_f32_e32 v77, v28, v77                                // 00000000F3A4: 0A9A9B1C
	v_mul_f32_e32 v78, v28, v78                                // 00000000F3A8: 0A9C9D1C
	v_mul_f32_e32 v79, v28, v79                                // 00000000F3AC: 0A9E9F1C
	v_mul_f32_e32 v80, v28, v80                                // 00000000F3B0: 0AA0A11C
	v_mul_f32_e32 v81, v28, v81                                // 00000000F3B4: 0AA2A31C
	v_mul_f32_e32 v82, v28, v82                                // 00000000F3B8: 0AA4A51C
	v_mul_f32_e32 v83, v28, v83                                // 00000000F3BC: 0AA6A71C
	v_mul_f32_e32 v84, v28, v84                                // 00000000F3C0: 0AA8A91C
	v_mul_f32_e32 v85, v28, v85                                // 00000000F3C4: 0AAAAB1C
	v_mul_f32_e32 v86, v28, v86                                // 00000000F3C8: 0AACAD1C
	v_mul_f32_e32 v87, v28, v87                                // 00000000F3CC: 0AAEAF1C
	v_mul_f32_e32 v88, v28, v88                                // 00000000F3D0: 0AB0B11C
	v_mul_f32_e32 v89, v28, v89                                // 00000000F3D4: 0AB2B31C
	v_mul_f32_e32 v90, v28, v90                                // 00000000F3D8: 0AB4B51C
	v_mul_f32_e32 v91, v28, v91                                // 00000000F3DC: 0AB6B71C
	v_mul_f32_e32 v92, v28, v92                                // 00000000F3E0: 0AB8B91C
	v_mul_f32_e32 v93, v28, v93                                // 00000000F3E4: 0ABABB1C
	v_mul_f32_e32 v94, v28, v94                                // 00000000F3E8: 0ABCBD1C
	v_mul_f32_e32 v95, v28, v95                                // 00000000F3EC: 0ABEBF1C
	v_mul_f32_e32 v96, v28, v96                                // 00000000F3F0: 0AC0C11C
	v_mul_f32_e32 v97, v28, v97                                // 00000000F3F4: 0AC2C31C
	v_mul_f32_e32 v98, v28, v98                                // 00000000F3F8: 0AC4C51C
	v_mul_f32_e32 v99, v28, v99                                // 00000000F3FC: 0AC6C71C
	v_mul_f32_e32 v100, v28, v100                              // 00000000F400: 0AC8C91C
	v_mul_f32_e32 v101, v28, v101                              // 00000000F404: 0ACACB1C
	v_mul_f32_e32 v102, v28, v102                              // 00000000F408: 0ACCCD1C
	v_mul_f32_e32 v103, v28, v103                              // 00000000F40C: 0ACECF1C
	v_mul_f32_e32 v104, v28, v104                              // 00000000F410: 0AD0D11C
	v_mul_f32_e32 v105, v28, v105                              // 00000000F414: 0AD2D31C
	v_mul_f32_e32 v106, v28, v106                              // 00000000F418: 0AD4D51C
	v_mul_f32_e32 v107, v28, v107                              // 00000000F41C: 0AD6D71C
	v_mul_f32_e32 v108, v28, v108                              // 00000000F420: 0AD8D91C
	v_mul_f32_e32 v109, v28, v109                              // 00000000F424: 0ADADB1C
	v_mul_f32_e32 v110, v28, v110                              // 00000000F428: 0ADCDD1C
	v_mul_f32_e32 v111, v28, v111                              // 00000000F42C: 0ADEDF1C
	v_mul_f32_e32 v112, v28, v112                              // 00000000F430: 0AE0E11C
	v_mul_f32_e32 v113, v28, v113                              // 00000000F434: 0AE2E31C
	v_mul_f32_e32 v114, v28, v114                              // 00000000F438: 0AE4E51C
	v_mul_f32_e32 v115, v28, v115                              // 00000000F43C: 0AE6E71C
	v_mul_f32_e32 v116, v28, v116                              // 00000000F440: 0AE8E91C
	v_mul_f32_e32 v117, v28, v117                              // 00000000F444: 0AEAEB1C
	v_mul_f32_e32 v118, v28, v118                              // 00000000F448: 0AECED1C
	v_mul_f32_e32 v119, v28, v119                              // 00000000F44C: 0AEEEF1C
	v_mul_f32_e32 v120, v28, v120                              // 00000000F450: 0AF0F11C
	v_mul_f32_e32 v121, v28, v121                              // 00000000F454: 0AF2F31C
	v_mul_f32_e32 v122, v28, v122                              // 00000000F458: 0AF4F51C
	v_mul_f32_e32 v123, v28, v123                              // 00000000F45C: 0AF6F71C
	v_mul_f32_e32 v124, v28, v124                              // 00000000F460: 0AF8F91C
	v_mul_f32_e32 v125, v28, v125                              // 00000000F464: 0AFAFB1C
	v_mul_f32_e32 v126, v28, v126                              // 00000000F468: 0AFCFD1C
	v_mul_f32_e32 v127, v28, v127                              // 00000000F46C: 0AFEFF1C
	v_mul_f32_e32 v128, v28, v128                              // 00000000F470: 0B01011C
	v_mul_f32_e32 v129, v28, v129                              // 00000000F474: 0B03031C
	v_mul_f32_e32 v130, v28, v130                              // 00000000F478: 0B05051C
	v_mul_f32_e32 v131, v28, v131                              // 00000000F47C: 0B07071C
	v_mul_f32_e32 v132, v28, v132                              // 00000000F480: 0B09091C
	v_mul_f32_e32 v133, v28, v133                              // 00000000F484: 0B0B0B1C
	v_mul_f32_e32 v134, v28, v134                              // 00000000F488: 0B0D0D1C
	v_mul_f32_e32 v135, v28, v135                              // 00000000F48C: 0B0F0F1C
	v_mul_f32_e32 v136, v28, v136                              // 00000000F490: 0B11111C
	v_mul_f32_e32 v137, v28, v137                              // 00000000F494: 0B13131C
	v_mul_f32_e32 v138, v28, v138                              // 00000000F498: 0B15151C
	v_mul_f32_e32 v139, v28, v139                              // 00000000F49C: 0B17171C
	v_mul_f32_e32 v140, v28, v140                              // 00000000F4A0: 0B19191C
	v_mul_f32_e32 v141, v28, v141                              // 00000000F4A4: 0B1B1B1C
	v_mul_f32_e32 v142, v28, v142                              // 00000000F4A8: 0B1D1D1C
	v_mul_f32_e32 v143, v28, v143                              // 00000000F4AC: 0B1F1F1C
	v_mul_f32_e32 v144, v28, v144                              // 00000000F4B0: 0B21211C
	v_mul_f32_e32 v145, v28, v145                              // 00000000F4B4: 0B23231C
	v_mul_f32_e32 v146, v28, v146                              // 00000000F4B8: 0B25251C
	v_mul_f32_e32 v147, v28, v147                              // 00000000F4BC: 0B27271C
	v_mul_f32_e32 v148, v28, v148                              // 00000000F4C0: 0B29291C
	v_mul_f32_e32 v149, v28, v149                              // 00000000F4C4: 0B2B2B1C
	v_mul_f32_e32 v150, v28, v150                              // 00000000F4C8: 0B2D2D1C
	v_mul_f32_e32 v151, v28, v151                              // 00000000F4CC: 0B2F2F1C
	v_mul_f32_e32 v152, v28, v152                              // 00000000F4D0: 0B31311C
	v_mul_f32_e32 v153, v28, v153                              // 00000000F4D4: 0B33331C
	v_mul_f32_e32 v154, v28, v154                              // 00000000F4D8: 0B35351C
	v_mul_f32_e32 v155, v28, v155                              // 00000000F4DC: 0B37371C
	v_mul_f32_e32 v156, v28, v156                              // 00000000F4E0: 0B39391C
	v_mul_f32_e32 v157, v28, v157                              // 00000000F4E4: 0B3B3B1C
	v_mul_f32_e32 v158, v28, v158                              // 00000000F4E8: 0B3D3D1C
	v_mul_f32_e32 v159, v28, v159                              // 00000000F4EC: 0B3F3F1C
	v_mul_f32_e32 v160, v28, v160                              // 00000000F4F0: 0B41411C
	v_mul_f32_e32 v161, v28, v161                              // 00000000F4F4: 0B43431C
	v_mul_f32_e32 v162, v28, v162                              // 00000000F4F8: 0B45451C
	v_mul_f32_e32 v163, v28, v163                              // 00000000F4FC: 0B47471C
	v_mul_f32_e32 v164, v28, v164                              // 00000000F500: 0B49491C
	v_mul_f32_e32 v165, v28, v165                              // 00000000F504: 0B4B4B1C
	v_mul_f32_e32 v166, v28, v166                              // 00000000F508: 0B4D4D1C
	v_mul_f32_e32 v167, v28, v167                              // 00000000F50C: 0B4F4F1C
	v_mul_f32_e32 v168, v28, v168                              // 00000000F510: 0B51511C
	v_mul_f32_e32 v169, v28, v169                              // 00000000F514: 0B53531C
	v_mul_f32_e32 v170, v28, v170                              // 00000000F518: 0B55551C
	v_mul_f32_e32 v171, v28, v171                              // 00000000F51C: 0B57571C
	v_mul_f32_e32 v172, v28, v172                              // 00000000F520: 0B59591C
	v_mul_f32_e32 v173, v28, v173                              // 00000000F524: 0B5B5B1C
	v_mul_f32_e32 v174, v28, v174                              // 00000000F528: 0B5D5D1C
	v_mul_f32_e32 v175, v28, v175                              // 00000000F52C: 0B5F5F1C
	v_mul_f32_e32 v176, v28, v176                              // 00000000F530: 0B61611C
	v_mul_f32_e32 v177, v28, v177                              // 00000000F534: 0B63631C
	v_mul_f32_e32 v178, v28, v178                              // 00000000F538: 0B65651C
	v_mul_f32_e32 v179, v28, v179                              // 00000000F53C: 0B67671C
	v_mul_f32_e32 v180, v28, v180                              // 00000000F540: 0B69691C
	v_mul_f32_e32 v181, v28, v181                              // 00000000F544: 0B6B6B1C
	v_mul_f32_e32 v182, v28, v182                              // 00000000F548: 0B6D6D1C
	v_mul_f32_e32 v183, v28, v183                              // 00000000F54C: 0B6F6F1C
	v_mul_f32_e32 v184, v28, v184                              // 00000000F550: 0B71711C
	v_mul_f32_e32 v185, v28, v185                              // 00000000F554: 0B73731C
	v_mul_f32_e32 v186, v28, v186                              // 00000000F558: 0B75751C
	v_mul_f32_e32 v187, v28, v187                              // 00000000F55C: 0B77771C
	v_mul_f32_e32 v188, v28, v188                              // 00000000F560: 0B79791C
	v_mul_f32_e32 v189, v28, v189                              // 00000000F564: 0B7B7B1C
	v_mul_f32_e32 v190, v28, v190                              // 00000000F568: 0B7D7D1C
	v_mul_f32_e32 v191, v28, v191                              // 00000000F56C: 0B7F7F1C
	v_mul_f32_e32 v192, v28, v192                              // 00000000F570: 0B81811C
	v_mul_f32_e32 v193, v28, v193                              // 00000000F574: 0B83831C
	v_mul_f32_e32 v194, v28, v194                              // 00000000F578: 0B85851C
	v_mul_f32_e32 v195, v28, v195                              // 00000000F57C: 0B87871C
	v_mul_f32_e32 v196, v28, v196                              // 00000000F580: 0B89891C
	v_mul_f32_e32 v197, v28, v197                              // 00000000F584: 0B8B8B1C
	v_mul_f32_e32 v198, v28, v198                              // 00000000F588: 0B8D8D1C
	v_mul_f32_e32 v199, v28, v199                              // 00000000F58C: 0B8F8F1C
	v_mul_f32_e32 v200, v28, v200                              // 00000000F590: 0B91911C
	v_mul_f32_e32 v201, v28, v201                              // 00000000F594: 0B93931C
	v_mul_f32_e32 v202, v28, v202                              // 00000000F598: 0B95951C
	v_mul_f32_e32 v203, v28, v203                              // 00000000F59C: 0B97971C
	v_mul_f32_e32 v204, v28, v204                              // 00000000F5A0: 0B99991C
	v_mul_f32_e32 v205, v28, v205                              // 00000000F5A4: 0B9B9B1C
	v_mul_f32_e32 v206, v28, v206                              // 00000000F5A8: 0B9D9D1C
	v_mul_f32_e32 v207, v28, v207                              // 00000000F5AC: 0B9F9F1C
	v_mul_f32_e32 v208, v28, v208                              // 00000000F5B0: 0BA1A11C
	v_mul_f32_e32 v209, v28, v209                              // 00000000F5B4: 0BA3A31C
	v_mul_f32_e32 v210, v28, v210                              // 00000000F5B8: 0BA5A51C
	v_mul_f32_e32 v211, v28, v211                              // 00000000F5BC: 0BA7A71C
	v_mul_f32_e32 v212, v28, v212                              // 00000000F5C0: 0BA9A91C
	v_mul_f32_e32 v213, v28, v213                              // 00000000F5C4: 0BABAB1C
	v_mul_f32_e32 v214, v28, v214                              // 00000000F5C8: 0BADAD1C
	v_mul_f32_e32 v215, v28, v215                              // 00000000F5CC: 0BAFAF1C
	v_mul_f32_e32 v216, v28, v216                              // 00000000F5D0: 0BB1B11C
	v_mul_f32_e32 v217, v28, v217                              // 00000000F5D4: 0BB3B31C
	v_mul_f32_e32 v218, v28, v218                              // 00000000F5D8: 0BB5B51C
	v_mul_f32_e32 v219, v28, v219                              // 00000000F5DC: 0BB7B71C
	v_mul_f32_e32 v220, v28, v220                              // 00000000F5E0: 0BB9B91C
	v_mul_f32_e32 v221, v28, v221                              // 00000000F5E4: 0BBBBB1C
	v_mul_f32_e32 v222, v28, v222                              // 00000000F5E8: 0BBDBD1C
	v_mul_f32_e32 v223, v28, v223                              // 00000000F5EC: 0BBFBF1C
	v_accvgpr_read_b32 v29, a144                               // 00000000F5F0: D3D8401D 18000190
	v_mul_f32_e32 v29, v28, v29                                // 00000000F5F8: 0A3A3B1C
	v_accvgpr_write_b32 a144, v29                              // 00000000F5FC: D3D94090 1800011D
	v_accvgpr_read_b32 v29, a145                               // 00000000F604: D3D8401D 18000191
	v_mul_f32_e32 v29, v28, v29                                // 00000000F60C: 0A3A3B1C
	v_accvgpr_write_b32 a145, v29                              // 00000000F610: D3D94091 1800011D
	v_accvgpr_read_b32 v29, a146                               // 00000000F618: D3D8401D 18000192
	v_mul_f32_e32 v29, v28, v29                                // 00000000F620: 0A3A3B1C
	v_accvgpr_write_b32 a146, v29                              // 00000000F624: D3D94092 1800011D
	v_accvgpr_read_b32 v29, a147                               // 00000000F62C: D3D8401D 18000193
	v_mul_f32_e32 v29, v28, v29                                // 00000000F634: 0A3A3B1C
	v_accvgpr_write_b32 a147, v29                              // 00000000F638: D3D94093 1800011D
	v_accvgpr_read_b32 v29, a148                               // 00000000F640: D3D8401D 18000194
	v_mul_f32_e32 v29, v28, v29                                // 00000000F648: 0A3A3B1C
	v_accvgpr_write_b32 a148, v29                              // 00000000F64C: D3D94094 1800011D
	v_accvgpr_read_b32 v29, a149                               // 00000000F654: D3D8401D 18000195
	v_mul_f32_e32 v29, v28, v29                                // 00000000F65C: 0A3A3B1C
	v_accvgpr_write_b32 a149, v29                              // 00000000F660: D3D94095 1800011D
	v_accvgpr_read_b32 v29, a150                               // 00000000F668: D3D8401D 18000196
	v_mul_f32_e32 v29, v28, v29                                // 00000000F670: 0A3A3B1C
	v_accvgpr_write_b32 a150, v29                              // 00000000F674: D3D94096 1800011D
	v_accvgpr_read_b32 v29, a151                               // 00000000F67C: D3D8401D 18000197
	v_mul_f32_e32 v29, v28, v29                                // 00000000F684: 0A3A3B1C
	v_accvgpr_write_b32 a151, v29                              // 00000000F688: D3D94097 1800011D
	v_accvgpr_read_b32 v29, a152                               // 00000000F690: D3D8401D 18000198
	v_mul_f32_e32 v29, v28, v29                                // 00000000F698: 0A3A3B1C
	v_accvgpr_write_b32 a152, v29                              // 00000000F69C: D3D94098 1800011D
	v_accvgpr_read_b32 v29, a153                               // 00000000F6A4: D3D8401D 18000199
	v_mul_f32_e32 v29, v28, v29                                // 00000000F6AC: 0A3A3B1C
	v_accvgpr_write_b32 a153, v29                              // 00000000F6B0: D3D94099 1800011D
	v_accvgpr_read_b32 v29, a154                               // 00000000F6B8: D3D8401D 1800019A
	v_mul_f32_e32 v29, v28, v29                                // 00000000F6C0: 0A3A3B1C
	v_accvgpr_write_b32 a154, v29                              // 00000000F6C4: D3D9409A 1800011D
	v_accvgpr_read_b32 v29, a155                               // 00000000F6CC: D3D8401D 1800019B
	v_mul_f32_e32 v29, v28, v29                                // 00000000F6D4: 0A3A3B1C
	v_accvgpr_write_b32 a155, v29                              // 00000000F6D8: D3D9409B 1800011D
	v_accvgpr_read_b32 v29, a156                               // 00000000F6E0: D3D8401D 1800019C
	v_mul_f32_e32 v29, v28, v29                                // 00000000F6E8: 0A3A3B1C
	v_accvgpr_write_b32 a156, v29                              // 00000000F6EC: D3D9409C 1800011D
	v_accvgpr_read_b32 v29, a157                               // 00000000F6F4: D3D8401D 1800019D
	v_mul_f32_e32 v29, v28, v29                                // 00000000F6FC: 0A3A3B1C
	v_accvgpr_write_b32 a157, v29                              // 00000000F700: D3D9409D 1800011D
	v_accvgpr_read_b32 v29, a158                               // 00000000F708: D3D8401D 1800019E
	v_mul_f32_e32 v29, v28, v29                                // 00000000F710: 0A3A3B1C
	v_accvgpr_write_b32 a158, v29                              // 00000000F714: D3D9409E 1800011D
	v_accvgpr_read_b32 v29, a159                               // 00000000F71C: D3D8401D 1800019F
	v_mul_f32_e32 v29, v28, v29                                // 00000000F724: 0A3A3B1C
	v_accvgpr_write_b32 a159, v29                              // 00000000F728: D3D9409F 1800011D
	v_accvgpr_read_b32 v29, a160                               // 00000000F730: D3D8401D 180001A0
	v_mul_f32_e32 v29, v28, v29                                // 00000000F738: 0A3A3B1C
	v_accvgpr_write_b32 a160, v29                              // 00000000F73C: D3D940A0 1800011D
	v_accvgpr_read_b32 v29, a161                               // 00000000F744: D3D8401D 180001A1
	v_mul_f32_e32 v29, v28, v29                                // 00000000F74C: 0A3A3B1C
	v_accvgpr_write_b32 a161, v29                              // 00000000F750: D3D940A1 1800011D
	v_accvgpr_read_b32 v29, a162                               // 00000000F758: D3D8401D 180001A2
	v_mul_f32_e32 v29, v28, v29                                // 00000000F760: 0A3A3B1C
	v_accvgpr_write_b32 a162, v29                              // 00000000F764: D3D940A2 1800011D
	v_accvgpr_read_b32 v29, a163                               // 00000000F76C: D3D8401D 180001A3
	v_mul_f32_e32 v29, v28, v29                                // 00000000F774: 0A3A3B1C
	v_accvgpr_write_b32 a163, v29                              // 00000000F778: D3D940A3 1800011D
	v_accvgpr_read_b32 v29, a164                               // 00000000F780: D3D8401D 180001A4
	v_mul_f32_e32 v29, v28, v29                                // 00000000F788: 0A3A3B1C
	v_accvgpr_write_b32 a164, v29                              // 00000000F78C: D3D940A4 1800011D
	v_accvgpr_read_b32 v29, a165                               // 00000000F794: D3D8401D 180001A5
	v_mul_f32_e32 v29, v28, v29                                // 00000000F79C: 0A3A3B1C
	v_accvgpr_write_b32 a165, v29                              // 00000000F7A0: D3D940A5 1800011D
	v_accvgpr_read_b32 v29, a166                               // 00000000F7A8: D3D8401D 180001A6
	v_mul_f32_e32 v29, v28, v29                                // 00000000F7B0: 0A3A3B1C
	v_accvgpr_write_b32 a166, v29                              // 00000000F7B4: D3D940A6 1800011D
	v_accvgpr_read_b32 v29, a167                               // 00000000F7BC: D3D8401D 180001A7
	v_mul_f32_e32 v29, v28, v29                                // 00000000F7C4: 0A3A3B1C
	v_accvgpr_write_b32 a167, v29                              // 00000000F7C8: D3D940A7 1800011D
	v_accvgpr_read_b32 v29, a168                               // 00000000F7D0: D3D8401D 180001A8
	v_mul_f32_e32 v29, v28, v29                                // 00000000F7D8: 0A3A3B1C
	v_accvgpr_write_b32 a168, v29                              // 00000000F7DC: D3D940A8 1800011D
	v_accvgpr_read_b32 v29, a169                               // 00000000F7E4: D3D8401D 180001A9
	v_mul_f32_e32 v29, v28, v29                                // 00000000F7EC: 0A3A3B1C
	v_accvgpr_write_b32 a169, v29                              // 00000000F7F0: D3D940A9 1800011D
	v_accvgpr_read_b32 v29, a170                               // 00000000F7F8: D3D8401D 180001AA
	v_mul_f32_e32 v29, v28, v29                                // 00000000F800: 0A3A3B1C
	v_accvgpr_write_b32 a170, v29                              // 00000000F804: D3D940AA 1800011D
	v_accvgpr_read_b32 v29, a171                               // 00000000F80C: D3D8401D 180001AB
	v_mul_f32_e32 v29, v28, v29                                // 00000000F814: 0A3A3B1C
	v_accvgpr_write_b32 a171, v29                              // 00000000F818: D3D940AB 1800011D
	v_accvgpr_read_b32 v29, a172                               // 00000000F820: D3D8401D 180001AC
	v_mul_f32_e32 v29, v28, v29                                // 00000000F828: 0A3A3B1C
	v_accvgpr_write_b32 a172, v29                              // 00000000F82C: D3D940AC 1800011D
	v_accvgpr_read_b32 v29, a173                               // 00000000F834: D3D8401D 180001AD
	v_mul_f32_e32 v29, v28, v29                                // 00000000F83C: 0A3A3B1C
	v_accvgpr_write_b32 a173, v29                              // 00000000F840: D3D940AD 1800011D
	v_accvgpr_read_b32 v29, a174                               // 00000000F848: D3D8401D 180001AE
	v_mul_f32_e32 v29, v28, v29                                // 00000000F850: 0A3A3B1C
	v_accvgpr_write_b32 a174, v29                              // 00000000F854: D3D940AE 1800011D
	v_accvgpr_read_b32 v29, a175                               // 00000000F85C: D3D8401D 180001AF
	v_mul_f32_e32 v29, v28, v29                                // 00000000F864: 0A3A3B1C
	v_accvgpr_write_b32 a175, v29                              // 00000000F868: D3D940AF 1800011D
	v_accvgpr_read_b32 v29, a176                               // 00000000F870: D3D8401D 180001B0
	v_mul_f32_e32 v29, v28, v29                                // 00000000F878: 0A3A3B1C
	v_accvgpr_write_b32 a176, v29                              // 00000000F87C: D3D940B0 1800011D
	v_accvgpr_read_b32 v29, a177                               // 00000000F884: D3D8401D 180001B1
	v_mul_f32_e32 v29, v28, v29                                // 00000000F88C: 0A3A3B1C
	v_accvgpr_write_b32 a177, v29                              // 00000000F890: D3D940B1 1800011D
	v_accvgpr_read_b32 v29, a178                               // 00000000F898: D3D8401D 180001B2
	v_mul_f32_e32 v29, v28, v29                                // 00000000F8A0: 0A3A3B1C
	v_accvgpr_write_b32 a178, v29                              // 00000000F8A4: D3D940B2 1800011D
	v_accvgpr_read_b32 v29, a179                               // 00000000F8AC: D3D8401D 180001B3
	v_mul_f32_e32 v29, v28, v29                                // 00000000F8B4: 0A3A3B1C
	v_accvgpr_write_b32 a179, v29                              // 00000000F8B8: D3D940B3 1800011D
	v_accvgpr_read_b32 v29, a180                               // 00000000F8C0: D3D8401D 180001B4
	v_mul_f32_e32 v29, v28, v29                                // 00000000F8C8: 0A3A3B1C
	v_accvgpr_write_b32 a180, v29                              // 00000000F8CC: D3D940B4 1800011D
	v_accvgpr_read_b32 v29, a181                               // 00000000F8D4: D3D8401D 180001B5
	v_mul_f32_e32 v29, v28, v29                                // 00000000F8DC: 0A3A3B1C
	v_accvgpr_write_b32 a181, v29                              // 00000000F8E0: D3D940B5 1800011D
	v_accvgpr_read_b32 v29, a182                               // 00000000F8E8: D3D8401D 180001B6
	v_mul_f32_e32 v29, v28, v29                                // 00000000F8F0: 0A3A3B1C
	v_accvgpr_write_b32 a182, v29                              // 00000000F8F4: D3D940B6 1800011D
	v_accvgpr_read_b32 v29, a183                               // 00000000F8FC: D3D8401D 180001B7
	v_mul_f32_e32 v29, v28, v29                                // 00000000F904: 0A3A3B1C
	v_accvgpr_write_b32 a183, v29                              // 00000000F908: D3D940B7 1800011D
	v_accvgpr_read_b32 v29, a184                               // 00000000F910: D3D8401D 180001B8
	v_mul_f32_e32 v29, v28, v29                                // 00000000F918: 0A3A3B1C
	v_accvgpr_write_b32 a184, v29                              // 00000000F91C: D3D940B8 1800011D
	v_accvgpr_read_b32 v29, a185                               // 00000000F924: D3D8401D 180001B9
	v_mul_f32_e32 v29, v28, v29                                // 00000000F92C: 0A3A3B1C
	v_accvgpr_write_b32 a185, v29                              // 00000000F930: D3D940B9 1800011D
	v_accvgpr_read_b32 v29, a186                               // 00000000F938: D3D8401D 180001BA
	v_mul_f32_e32 v29, v28, v29                                // 00000000F940: 0A3A3B1C
	v_accvgpr_write_b32 a186, v29                              // 00000000F944: D3D940BA 1800011D
	v_accvgpr_read_b32 v29, a187                               // 00000000F94C: D3D8401D 180001BB
	v_mul_f32_e32 v29, v28, v29                                // 00000000F954: 0A3A3B1C
	v_accvgpr_write_b32 a187, v29                              // 00000000F958: D3D940BB 1800011D
	v_accvgpr_read_b32 v29, a188                               // 00000000F960: D3D8401D 180001BC
	v_mul_f32_e32 v29, v28, v29                                // 00000000F968: 0A3A3B1C
	v_accvgpr_write_b32 a188, v29                              // 00000000F96C: D3D940BC 1800011D
	v_accvgpr_read_b32 v29, a189                               // 00000000F974: D3D8401D 180001BD
	v_mul_f32_e32 v29, v28, v29                                // 00000000F97C: 0A3A3B1C
	v_accvgpr_write_b32 a189, v29                              // 00000000F980: D3D940BD 1800011D
	v_accvgpr_read_b32 v29, a190                               // 00000000F988: D3D8401D 180001BE
	v_mul_f32_e32 v29, v28, v29                                // 00000000F990: 0A3A3B1C
	v_accvgpr_write_b32 a190, v29                              // 00000000F994: D3D940BE 1800011D
	v_accvgpr_read_b32 v29, a191                               // 00000000F99C: D3D8401D 180001BF
	v_mul_f32_e32 v29, v28, v29                                // 00000000F9A4: 0A3A3B1C
	v_accvgpr_write_b32 a191, v29                              // 00000000F9A8: D3D940BF 1800011D
	v_accvgpr_read_b32 v29, a192                               // 00000000F9B0: D3D8401D 180001C0
	v_mul_f32_e32 v29, v28, v29                                // 00000000F9B8: 0A3A3B1C
	v_accvgpr_write_b32 a192, v29                              // 00000000F9BC: D3D940C0 1800011D
	v_accvgpr_read_b32 v29, a193                               // 00000000F9C4: D3D8401D 180001C1
	v_mul_f32_e32 v29, v28, v29                                // 00000000F9CC: 0A3A3B1C
	v_accvgpr_write_b32 a193, v29                              // 00000000F9D0: D3D940C1 1800011D
	v_accvgpr_read_b32 v29, a194                               // 00000000F9D8: D3D8401D 180001C2
	v_mul_f32_e32 v29, v28, v29                                // 00000000F9E0: 0A3A3B1C
	v_accvgpr_write_b32 a194, v29                              // 00000000F9E4: D3D940C2 1800011D
	v_accvgpr_read_b32 v29, a195                               // 00000000F9EC: D3D8401D 180001C3
	v_mul_f32_e32 v29, v28, v29                                // 00000000F9F4: 0A3A3B1C
	v_accvgpr_write_b32 a195, v29                              // 00000000F9F8: D3D940C3 1800011D
	v_accvgpr_read_b32 v29, a196                               // 00000000FA00: D3D8401D 180001C4
	v_mul_f32_e32 v29, v28, v29                                // 00000000FA08: 0A3A3B1C
	v_accvgpr_write_b32 a196, v29                              // 00000000FA0C: D3D940C4 1800011D
	v_accvgpr_read_b32 v29, a197                               // 00000000FA14: D3D8401D 180001C5
	v_mul_f32_e32 v29, v28, v29                                // 00000000FA1C: 0A3A3B1C
	v_accvgpr_write_b32 a197, v29                              // 00000000FA20: D3D940C5 1800011D
	v_accvgpr_read_b32 v29, a198                               // 00000000FA28: D3D8401D 180001C6
	v_mul_f32_e32 v29, v28, v29                                // 00000000FA30: 0A3A3B1C
	v_accvgpr_write_b32 a198, v29                              // 00000000FA34: D3D940C6 1800011D
	v_accvgpr_read_b32 v29, a199                               // 00000000FA3C: D3D8401D 180001C7
	v_mul_f32_e32 v29, v28, v29                                // 00000000FA44: 0A3A3B1C
	v_accvgpr_write_b32 a199, v29                              // 00000000FA48: D3D940C7 1800011D
	v_accvgpr_read_b32 v29, a200                               // 00000000FA50: D3D8401D 180001C8
	v_mul_f32_e32 v29, v28, v29                                // 00000000FA58: 0A3A3B1C
	v_accvgpr_write_b32 a200, v29                              // 00000000FA5C: D3D940C8 1800011D
	v_accvgpr_read_b32 v29, a201                               // 00000000FA64: D3D8401D 180001C9
	v_mul_f32_e32 v29, v28, v29                                // 00000000FA6C: 0A3A3B1C
	v_accvgpr_write_b32 a201, v29                              // 00000000FA70: D3D940C9 1800011D
	v_accvgpr_read_b32 v29, a202                               // 00000000FA78: D3D8401D 180001CA
	v_mul_f32_e32 v29, v28, v29                                // 00000000FA80: 0A3A3B1C
	v_accvgpr_write_b32 a202, v29                              // 00000000FA84: D3D940CA 1800011D
	v_accvgpr_read_b32 v29, a203                               // 00000000FA8C: D3D8401D 180001CB
	v_mul_f32_e32 v29, v28, v29                                // 00000000FA94: 0A3A3B1C
	v_accvgpr_write_b32 a203, v29                              // 00000000FA98: D3D940CB 1800011D
	v_accvgpr_read_b32 v29, a204                               // 00000000FAA0: D3D8401D 180001CC
	v_mul_f32_e32 v29, v28, v29                                // 00000000FAA8: 0A3A3B1C
	v_accvgpr_write_b32 a204, v29                              // 00000000FAAC: D3D940CC 1800011D
	v_accvgpr_read_b32 v29, a205                               // 00000000FAB4: D3D8401D 180001CD
	v_mul_f32_e32 v29, v28, v29                                // 00000000FABC: 0A3A3B1C
	v_accvgpr_write_b32 a205, v29                              // 00000000FAC0: D3D940CD 1800011D
	v_accvgpr_read_b32 v29, a206                               // 00000000FAC8: D3D8401D 180001CE
	v_mul_f32_e32 v29, v28, v29                                // 00000000FAD0: 0A3A3B1C
	v_accvgpr_write_b32 a206, v29                              // 00000000FAD4: D3D940CE 1800011D
	v_accvgpr_read_b32 v29, a207                               // 00000000FADC: D3D8401D 180001CF
	v_mul_f32_e32 v29, v28, v29                                // 00000000FAE4: 0A3A3B1C
	v_accvgpr_write_b32 a207, v29                              // 00000000FAE8: D3D940CF 1800011D
	v_accvgpr_read_b32 v29, a208                               // 00000000FAF0: D3D8401D 180001D0
	v_mul_f32_e32 v29, v28, v29                                // 00000000FAF8: 0A3A3B1C
	v_accvgpr_write_b32 a208, v29                              // 00000000FAFC: D3D940D0 1800011D
	v_accvgpr_read_b32 v29, a209                               // 00000000FB04: D3D8401D 180001D1
	v_mul_f32_e32 v29, v28, v29                                // 00000000FB0C: 0A3A3B1C
	v_accvgpr_write_b32 a209, v29                              // 00000000FB10: D3D940D1 1800011D
	v_accvgpr_read_b32 v29, a210                               // 00000000FB18: D3D8401D 180001D2
	v_mul_f32_e32 v29, v28, v29                                // 00000000FB20: 0A3A3B1C
	v_accvgpr_write_b32 a210, v29                              // 00000000FB24: D3D940D2 1800011D
	v_accvgpr_read_b32 v29, a211                               // 00000000FB2C: D3D8401D 180001D3
	v_mul_f32_e32 v29, v28, v29                                // 00000000FB34: 0A3A3B1C
	v_accvgpr_write_b32 a211, v29                              // 00000000FB38: D3D940D3 1800011D
	v_accvgpr_read_b32 v29, a212                               // 00000000FB40: D3D8401D 180001D4
	v_mul_f32_e32 v29, v28, v29                                // 00000000FB48: 0A3A3B1C
	v_accvgpr_write_b32 a212, v29                              // 00000000FB4C: D3D940D4 1800011D
	v_accvgpr_read_b32 v29, a213                               // 00000000FB54: D3D8401D 180001D5
	v_mul_f32_e32 v29, v28, v29                                // 00000000FB5C: 0A3A3B1C
	v_accvgpr_write_b32 a213, v29                              // 00000000FB60: D3D940D5 1800011D
	v_accvgpr_read_b32 v29, a214                               // 00000000FB68: D3D8401D 180001D6
	v_mul_f32_e32 v29, v28, v29                                // 00000000FB70: 0A3A3B1C
	v_accvgpr_write_b32 a214, v29                              // 00000000FB74: D3D940D6 1800011D
	v_accvgpr_read_b32 v29, a215                               // 00000000FB7C: D3D8401D 180001D7
	v_mul_f32_e32 v29, v28, v29                                // 00000000FB84: 0A3A3B1C
	v_accvgpr_write_b32 a215, v29                              // 00000000FB88: D3D940D7 1800011D
	v_accvgpr_read_b32 v29, a216                               // 00000000FB90: D3D8401D 180001D8
	v_mul_f32_e32 v29, v28, v29                                // 00000000FB98: 0A3A3B1C
	v_accvgpr_write_b32 a216, v29                              // 00000000FB9C: D3D940D8 1800011D
	v_accvgpr_read_b32 v29, a217                               // 00000000FBA4: D3D8401D 180001D9
	v_mul_f32_e32 v29, v28, v29                                // 00000000FBAC: 0A3A3B1C
	v_accvgpr_write_b32 a217, v29                              // 00000000FBB0: D3D940D9 1800011D
	v_accvgpr_read_b32 v29, a218                               // 00000000FBB8: D3D8401D 180001DA
	v_mul_f32_e32 v29, v28, v29                                // 00000000FBC0: 0A3A3B1C
	v_accvgpr_write_b32 a218, v29                              // 00000000FBC4: D3D940DA 1800011D
	v_accvgpr_read_b32 v29, a219                               // 00000000FBCC: D3D8401D 180001DB
	v_mul_f32_e32 v29, v28, v29                                // 00000000FBD4: 0A3A3B1C
	v_accvgpr_write_b32 a219, v29                              // 00000000FBD8: D3D940DB 1800011D
	v_accvgpr_read_b32 v29, a220                               // 00000000FBE0: D3D8401D 180001DC
	v_mul_f32_e32 v29, v28, v29                                // 00000000FBE8: 0A3A3B1C
	v_accvgpr_write_b32 a220, v29                              // 00000000FBEC: D3D940DC 1800011D
	v_accvgpr_read_b32 v29, a221                               // 00000000FBF4: D3D8401D 180001DD
	v_mul_f32_e32 v29, v28, v29                                // 00000000FBFC: 0A3A3B1C
	v_accvgpr_write_b32 a221, v29                              // 00000000FC00: D3D940DD 1800011D
	v_accvgpr_read_b32 v29, a222                               // 00000000FC08: D3D8401D 180001DE
	v_mul_f32_e32 v29, v28, v29                                // 00000000FC10: 0A3A3B1C
	v_accvgpr_write_b32 a222, v29                              // 00000000FC14: D3D940DE 1800011D
	v_accvgpr_read_b32 v29, a223                               // 00000000FC1C: D3D8401D 180001DF
	v_mul_f32_e32 v29, v28, v29                                // 00000000FC24: 0A3A3B1C
	v_accvgpr_write_b32 a223, v29                              // 00000000FC28: D3D940DF 1800011D
	v_accvgpr_read_b32 v29, a224                               // 00000000FC30: D3D8401D 180001E0
	v_mul_f32_e32 v29, v28, v29                                // 00000000FC38: 0A3A3B1C
	v_accvgpr_write_b32 a224, v29                              // 00000000FC3C: D3D940E0 1800011D
	v_accvgpr_read_b32 v29, a225                               // 00000000FC44: D3D8401D 180001E1
	v_mul_f32_e32 v29, v28, v29                                // 00000000FC4C: 0A3A3B1C
	v_accvgpr_write_b32 a225, v29                              // 00000000FC50: D3D940E1 1800011D
	v_accvgpr_read_b32 v29, a226                               // 00000000FC58: D3D8401D 180001E2
	v_mul_f32_e32 v29, v28, v29                                // 00000000FC60: 0A3A3B1C
	v_accvgpr_write_b32 a226, v29                              // 00000000FC64: D3D940E2 1800011D
	v_accvgpr_read_b32 v29, a227                               // 00000000FC6C: D3D8401D 180001E3
	v_mul_f32_e32 v29, v28, v29                                // 00000000FC74: 0A3A3B1C
	v_accvgpr_write_b32 a227, v29                              // 00000000FC78: D3D940E3 1800011D
	v_accvgpr_read_b32 v29, a228                               // 00000000FC80: D3D8401D 180001E4
	v_mul_f32_e32 v29, v28, v29                                // 00000000FC88: 0A3A3B1C
	v_accvgpr_write_b32 a228, v29                              // 00000000FC8C: D3D940E4 1800011D
	v_accvgpr_read_b32 v29, a229                               // 00000000FC94: D3D8401D 180001E5
	v_mul_f32_e32 v29, v28, v29                                // 00000000FC9C: 0A3A3B1C
	v_accvgpr_write_b32 a229, v29                              // 00000000FCA0: D3D940E5 1800011D
	v_accvgpr_read_b32 v29, a230                               // 00000000FCA8: D3D8401D 180001E6
	v_mul_f32_e32 v29, v28, v29                                // 00000000FCB0: 0A3A3B1C
	v_accvgpr_write_b32 a230, v29                              // 00000000FCB4: D3D940E6 1800011D
	v_accvgpr_read_b32 v29, a231                               // 00000000FCBC: D3D8401D 180001E7
	v_mul_f32_e32 v29, v28, v29                                // 00000000FCC4: 0A3A3B1C
	v_accvgpr_write_b32 a231, v29                              // 00000000FCC8: D3D940E7 1800011D
	v_accvgpr_read_b32 v29, a232                               // 00000000FCD0: D3D8401D 180001E8
	v_mul_f32_e32 v29, v28, v29                                // 00000000FCD8: 0A3A3B1C
	v_accvgpr_write_b32 a232, v29                              // 00000000FCDC: D3D940E8 1800011D
	v_accvgpr_read_b32 v29, a233                               // 00000000FCE4: D3D8401D 180001E9
	v_mul_f32_e32 v29, v28, v29                                // 00000000FCEC: 0A3A3B1C
	v_accvgpr_write_b32 a233, v29                              // 00000000FCF0: D3D940E9 1800011D
	v_accvgpr_read_b32 v29, a234                               // 00000000FCF8: D3D8401D 180001EA
	v_mul_f32_e32 v29, v28, v29                                // 00000000FD00: 0A3A3B1C
	v_accvgpr_write_b32 a234, v29                              // 00000000FD04: D3D940EA 1800011D
	v_accvgpr_read_b32 v29, a235                               // 00000000FD0C: D3D8401D 180001EB
	v_mul_f32_e32 v29, v28, v29                                // 00000000FD14: 0A3A3B1C
	v_accvgpr_write_b32 a235, v29                              // 00000000FD18: D3D940EB 1800011D
	v_accvgpr_read_b32 v29, a236                               // 00000000FD20: D3D8401D 180001EC
	v_mul_f32_e32 v29, v28, v29                                // 00000000FD28: 0A3A3B1C
	v_accvgpr_write_b32 a236, v29                              // 00000000FD2C: D3D940EC 1800011D
	v_accvgpr_read_b32 v29, a237                               // 00000000FD34: D3D8401D 180001ED
	v_mul_f32_e32 v29, v28, v29                                // 00000000FD3C: 0A3A3B1C
	v_accvgpr_write_b32 a237, v29                              // 00000000FD40: D3D940ED 1800011D
	v_accvgpr_read_b32 v29, a238                               // 00000000FD48: D3D8401D 180001EE
	v_mul_f32_e32 v29, v28, v29                                // 00000000FD50: 0A3A3B1C
	v_accvgpr_write_b32 a238, v29                              // 00000000FD54: D3D940EE 1800011D
	v_accvgpr_read_b32 v29, a239                               // 00000000FD5C: D3D8401D 180001EF
	v_mul_f32_e32 v29, v28, v29                                // 00000000FD64: 0A3A3B1C
	v_accvgpr_write_b32 a239, v29                              // 00000000FD68: D3D940EF 1800011D
	v_mfma_f32_32x32x64_f8f6f4 v[64:79], a[72:79], v[32:39], v[64:79]// 00000000FD70: D3AE0040 0D024148
	v_mfma_f32_32x32x64_f8f6f4 v[80:95], a[80:87], v[32:39], v[80:95]// 00000000FD78: D3AE0050 0D424150
	v_mfma_f32_32x32x64_f8f6f4 v[96:111], a[88:95], v[32:39], v[96:111]// 00000000FD80: D3AE0060 0D824158
	v_mfma_f32_32x32x64_f8f6f4 v[112:127], a[96:103], v[32:39], v[112:127]// 00000000FD88: D3AE0070 0DC24160
	v_mfma_f32_32x32x64_f8f6f4 v[128:143], a[104:111], v[32:39], v[128:143]// 00000000FD90: D3AE0080 0E024168
	v_mfma_f32_32x32x64_f8f6f4 v[144:159], a[112:119], v[32:39], v[144:159]// 00000000FD98: D3AE0090 0E424170
	v_mfma_f32_32x32x64_f8f6f4 v[160:175], a[120:127], v[32:39], v[160:175]// 00000000FDA0: D3AE00A0 0E824178
	v_mfma_f32_32x32x64_f8f6f4 v[176:191], a[128:135], v[32:39], v[176:191]// 00000000FDA8: D3AE00B0 0EC24180
	ds_read_b64_tr_b8 a[72:73], v13 offset:4096                // 00000000FDB0: DBC41000 4800000D
	ds_read_b64_tr_b8 a[74:75], v14 offset:4096                // 00000000FDB8: DBC41000 4A00000E
	ds_read_b64_tr_b8 a[76:77], v13 offset:22528               // 00000000FDC0: DBC45800 4C00000D
	ds_read_b64_tr_b8 a[78:79], v14 offset:22528               // 00000000FDC8: DBC45800 4E00000E
	ds_read_b64_tr_b8 a[80:81], v15 offset:4096                // 00000000FDD0: DBC41000 5000000F
	ds_read_b64_tr_b8 a[82:83], v16 offset:4096                // 00000000FDD8: DBC41000 52000010
	ds_read_b64_tr_b8 a[84:85], v15 offset:22528               // 00000000FDE0: DBC45800 5400000F
	ds_read_b64_tr_b8 a[86:87], v16 offset:22528               // 00000000FDE8: DBC45800 56000010
	ds_read_b64_tr_b8 a[88:89], v13 offset:5120                // 00000000FDF0: DBC41400 5800000D
	ds_read_b64_tr_b8 a[90:91], v14 offset:5120                // 00000000FDF8: DBC41400 5A00000E
	ds_read_b64_tr_b8 a[92:93], v13 offset:23552               // 00000000FE00: DBC45C00 5C00000D
	ds_read_b64_tr_b8 a[94:95], v14 offset:23552               // 00000000FE08: DBC45C00 5E00000E
	ds_read_b64_tr_b8 a[96:97], v15 offset:5120                // 00000000FE10: DBC41400 6000000F
	ds_read_b64_tr_b8 a[98:99], v16 offset:5120                // 00000000FE18: DBC41400 62000010
	ds_read_b64_tr_b8 a[100:101], v15 offset:23552             // 00000000FE20: DBC45C00 6400000F
	ds_read_b64_tr_b8 a[102:103], v16 offset:23552             // 00000000FE28: DBC45C00 66000010
	ds_read_b64_tr_b8 a[104:105], v13 offset:6144              // 00000000FE30: DBC41800 6800000D
	ds_read_b64_tr_b8 a[106:107], v14 offset:6144              // 00000000FE38: DBC41800 6A00000E
	ds_read_b64_tr_b8 a[108:109], v13 offset:24576             // 00000000FE40: DBC46000 6C00000D
	ds_read_b64_tr_b8 a[110:111], v14 offset:24576             // 00000000FE48: DBC46000 6E00000E
	ds_read_b64_tr_b8 a[112:113], v15 offset:6144              // 00000000FE50: DBC41800 7000000F
	ds_read_b64_tr_b8 a[114:115], v16 offset:6144              // 00000000FE58: DBC41800 72000010
	ds_read_b64_tr_b8 a[116:117], v15 offset:24576             // 00000000FE60: DBC46000 7400000F
	ds_read_b64_tr_b8 a[118:119], v16 offset:24576             // 00000000FE68: DBC46000 76000010
	ds_read_b64_tr_b8 a[120:121], v13 offset:7168              // 00000000FE70: DBC41C00 7800000D
	ds_read_b64_tr_b8 a[122:123], v14 offset:7168              // 00000000FE78: DBC41C00 7A00000E
	ds_read_b64_tr_b8 a[124:125], v13 offset:25600             // 00000000FE80: DBC46400 7C00000D
	ds_read_b64_tr_b8 a[126:127], v14 offset:25600             // 00000000FE88: DBC46400 7E00000E
	ds_read_b64_tr_b8 a[128:129], v15 offset:7168              // 00000000FE90: DBC41C00 8000000F
	ds_read_b64_tr_b8 a[130:131], v16 offset:7168              // 00000000FE98: DBC41C00 82000010
	ds_read_b64_tr_b8 a[132:133], v15 offset:25600             // 00000000FEA0: DBC46400 8400000F
	ds_read_b64_tr_b8 a[134:135], v16 offset:25600             // 00000000FEA8: DBC46400 86000010
	s_waitcnt lgkmcnt(0)                                       // 00000000FEB0: BF8CC07F
	v_mfma_f32_32x32x64_f8f6f4 v[192:207], a[72:79], v[32:39], v[192:207]// 00000000FEB4: D3AE00C0 0F024148
	v_mfma_f32_32x32x64_f8f6f4 v[208:223], a[80:87], v[32:39], v[208:223]// 00000000FEBC: D3AE00D0 0F424150
	v_mfma_f32_32x32x64_f8f6f4 a[144:159], a[88:95], v[32:39], a[144:159]// 00000000FEC4: D3AE8090 0E424158
	v_mfma_f32_32x32x64_f8f6f4 a[160:175], a[96:103], v[32:39], a[160:175]// 00000000FECC: D3AE80A0 0E824160
	v_mfma_f32_32x32x64_f8f6f4 a[176:191], a[104:111], v[32:39], a[176:191]// 00000000FED4: D3AE80B0 0EC24168
	v_mfma_f32_32x32x64_f8f6f4 a[192:207], a[112:119], v[32:39], a[192:207]// 00000000FEDC: D3AE80C0 0F024170
	v_mfma_f32_32x32x64_f8f6f4 a[208:223], a[120:127], v[32:39], a[208:223]// 00000000FEE4: D3AE80D0 0F424178
	v_mfma_f32_32x32x64_f8f6f4 a[224:239], a[128:135], v[32:39], a[224:239]// 00000000FEEC: D3AE80E0 0F824180
	s_nop 8                                                    // 00000000FEF4: BF800008
	s_branch label_DE04                                        // 00000000FEF8: BF820000

000000000000fefc <label_DE04>:
	v_mov_b32_e32 v28, v4                                      // 00000000FEFC: 7E380304
	v_mov_b32_e32 v29, v4                                      // 00000000FF00: 7E3A0304
	s_nop 1                                                    // 00000000FF04: BF800001
	v_permlane32_swap_b32_e32 v28, v29                         // 00000000FF08: 7E38B51D
	v_mov_b32_e32 v4, 0                                        // 00000000FF0C: 7E080280
	v_add_f32_e32 v4, v28, v4                                  // 00000000FF10: 0208091C
	v_add_f32_e32 v4, v29, v4                                  // 00000000FF14: 0208091D
	v_mov_b32_e32 v28, 0                                       // 00000000FF18: 7E380280
	v_cmp_eq_u32_e64 s[36:37], v28, v4                         // 00000000FF1C: D0CA0024 0002091C
	v_mul_f32_e64 v28, v2, s64                                 // 00000000FF24: D105001C 00008102
	v_log_f32_e32 v29, v4                                      // 00000000FF2C: 7E3A4304
	s_nop 1                                                    // 00000000FF30: BF800001
	v_rcp_f32_e32 v4, v4                                       // 00000000FF34: 7E084504
	s_nop 1                                                    // 00000000FF38: BF800001
	v_fma_f32 v5, v29, s63, v28                                // 00000000FF3C: D1CB0005 04707F1D
	v_mul_f32_e32 v4, s61, v4                                  // 00000000FF44: 0A08083D
	v_mov_b32_e32 v32, v4                                      // 00000000FF48: 7E400304
	v_mov_b32_e32 v33, v4                                      // 00000000FF4C: 7E420304
	v_pk_mul_f32 v[64:65], v[32:33], v[64:65]                  // 00000000FF50: D3B14040 18028120
	v_pk_mul_f32 v[66:67], v[32:33], v[66:67]                  // 00000000FF58: D3B14042 18028520
	v_pk_mul_f32 v[68:69], v[32:33], v[68:69]                  // 00000000FF60: D3B14044 18028920
	v_pk_mul_f32 v[70:71], v[32:33], v[70:71]                  // 00000000FF68: D3B14046 18028D20
	v_pk_mul_f32 v[72:73], v[32:33], v[72:73]                  // 00000000FF70: D3B14048 18029120
	v_pk_mul_f32 v[74:75], v[32:33], v[74:75]                  // 00000000FF78: D3B1404A 18029520
	v_pk_mul_f32 v[76:77], v[32:33], v[76:77]                  // 00000000FF80: D3B1404C 18029920
	v_pk_mul_f32 v[78:79], v[32:33], v[78:79]                  // 00000000FF88: D3B1404E 18029D20
	v_pk_mul_f32 v[80:81], v[32:33], v[80:81]                  // 00000000FF90: D3B14050 1802A120
	v_pk_mul_f32 v[82:83], v[32:33], v[82:83]                  // 00000000FF98: D3B14052 1802A520
	v_pk_mul_f32 v[84:85], v[32:33], v[84:85]                  // 00000000FFA0: D3B14054 1802A920
	v_pk_mul_f32 v[86:87], v[32:33], v[86:87]                  // 00000000FFA8: D3B14056 1802AD20
	v_pk_mul_f32 v[88:89], v[32:33], v[88:89]                  // 00000000FFB0: D3B14058 1802B120
	v_pk_mul_f32 v[90:91], v[32:33], v[90:91]                  // 00000000FFB8: D3B1405A 1802B520
	v_pk_mul_f32 v[92:93], v[32:33], v[92:93]                  // 00000000FFC0: D3B1405C 1802B920
	v_pk_mul_f32 v[94:95], v[32:33], v[94:95]                  // 00000000FFC8: D3B1405E 1802BD20
	v_pk_mul_f32 v[96:97], v[32:33], v[96:97]                  // 00000000FFD0: D3B14060 1802C120
	v_pk_mul_f32 v[98:99], v[32:33], v[98:99]                  // 00000000FFD8: D3B14062 1802C520
	v_pk_mul_f32 v[100:101], v[32:33], v[100:101]              // 00000000FFE0: D3B14064 1802C920
	v_pk_mul_f32 v[102:103], v[32:33], v[102:103]              // 00000000FFE8: D3B14066 1802CD20
	v_pk_mul_f32 v[104:105], v[32:33], v[104:105]              // 00000000FFF0: D3B14068 1802D120
	v_pk_mul_f32 v[106:107], v[32:33], v[106:107]              // 00000000FFF8: D3B1406A 1802D520
	v_pk_mul_f32 v[108:109], v[32:33], v[108:109]              // 000000010000: D3B1406C 1802D920
	v_pk_mul_f32 v[110:111], v[32:33], v[110:111]              // 000000010008: D3B1406E 1802DD20
	v_pk_mul_f32 v[112:113], v[32:33], v[112:113]              // 000000010010: D3B14070 1802E120
	v_pk_mul_f32 v[114:115], v[32:33], v[114:115]              // 000000010018: D3B14072 1802E520
	v_pk_mul_f32 v[116:117], v[32:33], v[116:117]              // 000000010020: D3B14074 1802E920
	v_pk_mul_f32 v[118:119], v[32:33], v[118:119]              // 000000010028: D3B14076 1802ED20
	v_pk_mul_f32 v[120:121], v[32:33], v[120:121]              // 000000010030: D3B14078 1802F120
	v_pk_mul_f32 v[122:123], v[32:33], v[122:123]              // 000000010038: D3B1407A 1802F520
	v_pk_mul_f32 v[124:125], v[32:33], v[124:125]              // 000000010040: D3B1407C 1802F920
	v_pk_mul_f32 v[126:127], v[32:33], v[126:127]              // 000000010048: D3B1407E 1802FD20
	v_pk_mul_f32 v[128:129], v[32:33], v[128:129]              // 000000010050: D3B14080 18030120
	v_pk_mul_f32 v[130:131], v[32:33], v[130:131]              // 000000010058: D3B14082 18030520
	v_pk_mul_f32 v[132:133], v[32:33], v[132:133]              // 000000010060: D3B14084 18030920
	v_pk_mul_f32 v[134:135], v[32:33], v[134:135]              // 000000010068: D3B14086 18030D20
	v_pk_mul_f32 v[136:137], v[32:33], v[136:137]              // 000000010070: D3B14088 18031120
	v_pk_mul_f32 v[138:139], v[32:33], v[138:139]              // 000000010078: D3B1408A 18031520
	v_pk_mul_f32 v[140:141], v[32:33], v[140:141]              // 000000010080: D3B1408C 18031920
	v_pk_mul_f32 v[142:143], v[32:33], v[142:143]              // 000000010088: D3B1408E 18031D20
	v_pk_mul_f32 v[144:145], v[32:33], v[144:145]              // 000000010090: D3B14090 18032120
	v_pk_mul_f32 v[146:147], v[32:33], v[146:147]              // 000000010098: D3B14092 18032520
	v_pk_mul_f32 v[148:149], v[32:33], v[148:149]              // 0000000100A0: D3B14094 18032920
	v_pk_mul_f32 v[150:151], v[32:33], v[150:151]              // 0000000100A8: D3B14096 18032D20
	v_pk_mul_f32 v[152:153], v[32:33], v[152:153]              // 0000000100B0: D3B14098 18033120
	v_pk_mul_f32 v[154:155], v[32:33], v[154:155]              // 0000000100B8: D3B1409A 18033520
	v_pk_mul_f32 v[156:157], v[32:33], v[156:157]              // 0000000100C0: D3B1409C 18033920
	v_pk_mul_f32 v[158:159], v[32:33], v[158:159]              // 0000000100C8: D3B1409E 18033D20
	v_pk_mul_f32 v[160:161], v[32:33], v[160:161]              // 0000000100D0: D3B140A0 18034120
	v_pk_mul_f32 v[162:163], v[32:33], v[162:163]              // 0000000100D8: D3B140A2 18034520
	v_pk_mul_f32 v[164:165], v[32:33], v[164:165]              // 0000000100E0: D3B140A4 18034920
	v_pk_mul_f32 v[166:167], v[32:33], v[166:167]              // 0000000100E8: D3B140A6 18034D20
	v_pk_mul_f32 v[168:169], v[32:33], v[168:169]              // 0000000100F0: D3B140A8 18035120
	v_pk_mul_f32 v[170:171], v[32:33], v[170:171]              // 0000000100F8: D3B140AA 18035520
	v_pk_mul_f32 v[172:173], v[32:33], v[172:173]              // 000000010100: D3B140AC 18035920
	v_pk_mul_f32 v[174:175], v[32:33], v[174:175]              // 000000010108: D3B140AE 18035D20
	v_pk_mul_f32 v[176:177], v[32:33], v[176:177]              // 000000010110: D3B140B0 18036120
	v_pk_mul_f32 v[178:179], v[32:33], v[178:179]              // 000000010118: D3B140B2 18036520
	v_pk_mul_f32 v[180:181], v[32:33], v[180:181]              // 000000010120: D3B140B4 18036920
	v_pk_mul_f32 v[182:183], v[32:33], v[182:183]              // 000000010128: D3B140B6 18036D20
	v_pk_mul_f32 v[184:185], v[32:33], v[184:185]              // 000000010130: D3B140B8 18037120
	v_pk_mul_f32 v[186:187], v[32:33], v[186:187]              // 000000010138: D3B140BA 18037520
	v_pk_mul_f32 v[188:189], v[32:33], v[188:189]              // 000000010140: D3B140BC 18037920
	v_pk_mul_f32 v[190:191], v[32:33], v[190:191]              // 000000010148: D3B140BE 18037D20
	v_pk_mul_f32 v[192:193], v[32:33], v[192:193]              // 000000010150: D3B140C0 18038120
	v_pk_mul_f32 v[194:195], v[32:33], v[194:195]              // 000000010158: D3B140C2 18038520
	v_pk_mul_f32 v[196:197], v[32:33], v[196:197]              // 000000010160: D3B140C4 18038920
	v_pk_mul_f32 v[198:199], v[32:33], v[198:199]              // 000000010168: D3B140C6 18038D20
	v_pk_mul_f32 v[200:201], v[32:33], v[200:201]              // 000000010170: D3B140C8 18039120
	v_pk_mul_f32 v[202:203], v[32:33], v[202:203]              // 000000010178: D3B140CA 18039520
	v_pk_mul_f32 v[204:205], v[32:33], v[204:205]              // 000000010180: D3B140CC 18039920
	v_pk_mul_f32 v[206:207], v[32:33], v[206:207]              // 000000010188: D3B140CE 18039D20
	v_pk_mul_f32 v[208:209], v[32:33], v[208:209]              // 000000010190: D3B140D0 1803A120
	v_pk_mul_f32 v[210:211], v[32:33], v[210:211]              // 000000010198: D3B140D2 1803A520
	v_pk_mul_f32 v[212:213], v[32:33], v[212:213]              // 0000000101A0: D3B140D4 1803A920
	v_pk_mul_f32 v[214:215], v[32:33], v[214:215]              // 0000000101A8: D3B140D6 1803AD20
	v_pk_mul_f32 v[216:217], v[32:33], v[216:217]              // 0000000101B0: D3B140D8 1803B120
	v_pk_mul_f32 v[218:219], v[32:33], v[218:219]              // 0000000101B8: D3B140DA 1803B520
	v_pk_mul_f32 v[220:221], v[32:33], v[220:221]              // 0000000101C0: D3B140DC 1803B920
	v_pk_mul_f32 v[222:223], v[32:33], v[222:223]              // 0000000101C8: D3B140DE 1803BD20
	v_accvgpr_read_b32 v34, a144                               // 0000000101D0: D3D84022 18000190
	v_accvgpr_read_b32 v35, a145                               // 0000000101D8: D3D84023 18000191
	v_pk_mul_f32 v[34:35], v[32:33], v[34:35]                  // 0000000101E0: D3B14022 18024520
	v_accvgpr_write_b32 a144, v34                              // 0000000101E8: D3D94090 18000122
	v_accvgpr_write_b32 a145, v35                              // 0000000101F0: D3D94091 18000123
	v_accvgpr_read_b32 v34, a146                               // 0000000101F8: D3D84022 18000192
	v_accvgpr_read_b32 v35, a147                               // 000000010200: D3D84023 18000193
	v_pk_mul_f32 v[34:35], v[32:33], v[34:35]                  // 000000010208: D3B14022 18024520
	v_accvgpr_write_b32 a146, v34                              // 000000010210: D3D94092 18000122
	v_accvgpr_write_b32 a147, v35                              // 000000010218: D3D94093 18000123
	v_accvgpr_read_b32 v34, a148                               // 000000010220: D3D84022 18000194
	v_accvgpr_read_b32 v35, a149                               // 000000010228: D3D84023 18000195
	v_pk_mul_f32 v[34:35], v[32:33], v[34:35]                  // 000000010230: D3B14022 18024520
	v_accvgpr_write_b32 a148, v34                              // 000000010238: D3D94094 18000122
	v_accvgpr_write_b32 a149, v35                              // 000000010240: D3D94095 18000123
	v_accvgpr_read_b32 v34, a150                               // 000000010248: D3D84022 18000196
	v_accvgpr_read_b32 v35, a151                               // 000000010250: D3D84023 18000197
	v_pk_mul_f32 v[34:35], v[32:33], v[34:35]                  // 000000010258: D3B14022 18024520
	v_accvgpr_write_b32 a150, v34                              // 000000010260: D3D94096 18000122
	v_accvgpr_write_b32 a151, v35                              // 000000010268: D3D94097 18000123
	v_accvgpr_read_b32 v34, a152                               // 000000010270: D3D84022 18000198
	v_accvgpr_read_b32 v35, a153                               // 000000010278: D3D84023 18000199
	v_pk_mul_f32 v[34:35], v[32:33], v[34:35]                  // 000000010280: D3B14022 18024520
	v_accvgpr_write_b32 a152, v34                              // 000000010288: D3D94098 18000122
	v_accvgpr_write_b32 a153, v35                              // 000000010290: D3D94099 18000123
	v_accvgpr_read_b32 v34, a154                               // 000000010298: D3D84022 1800019A
	v_accvgpr_read_b32 v35, a155                               // 0000000102A0: D3D84023 1800019B
	v_pk_mul_f32 v[34:35], v[32:33], v[34:35]                  // 0000000102A8: D3B14022 18024520
	v_accvgpr_write_b32 a154, v34                              // 0000000102B0: D3D9409A 18000122
	v_accvgpr_write_b32 a155, v35                              // 0000000102B8: D3D9409B 18000123
	v_accvgpr_read_b32 v34, a156                               // 0000000102C0: D3D84022 1800019C
	v_accvgpr_read_b32 v35, a157                               // 0000000102C8: D3D84023 1800019D
	v_pk_mul_f32 v[34:35], v[32:33], v[34:35]                  // 0000000102D0: D3B14022 18024520
	v_accvgpr_write_b32 a156, v34                              // 0000000102D8: D3D9409C 18000122
	v_accvgpr_write_b32 a157, v35                              // 0000000102E0: D3D9409D 18000123
	v_accvgpr_read_b32 v34, a158                               // 0000000102E8: D3D84022 1800019E
	v_accvgpr_read_b32 v35, a159                               // 0000000102F0: D3D84023 1800019F
	v_pk_mul_f32 v[34:35], v[32:33], v[34:35]                  // 0000000102F8: D3B14022 18024520
	v_accvgpr_write_b32 a158, v34                              // 000000010300: D3D9409E 18000122
	v_accvgpr_write_b32 a159, v35                              // 000000010308: D3D9409F 18000123
	v_accvgpr_read_b32 v34, a160                               // 000000010310: D3D84022 180001A0
	v_accvgpr_read_b32 v35, a161                               // 000000010318: D3D84023 180001A1
	v_pk_mul_f32 v[34:35], v[32:33], v[34:35]                  // 000000010320: D3B14022 18024520
	v_accvgpr_write_b32 a160, v34                              // 000000010328: D3D940A0 18000122
	v_accvgpr_write_b32 a161, v35                              // 000000010330: D3D940A1 18000123
	v_accvgpr_read_b32 v34, a162                               // 000000010338: D3D84022 180001A2
	v_accvgpr_read_b32 v35, a163                               // 000000010340: D3D84023 180001A3
	v_pk_mul_f32 v[34:35], v[32:33], v[34:35]                  // 000000010348: D3B14022 18024520
	v_accvgpr_write_b32 a162, v34                              // 000000010350: D3D940A2 18000122
	v_accvgpr_write_b32 a163, v35                              // 000000010358: D3D940A3 18000123
	v_accvgpr_read_b32 v34, a164                               // 000000010360: D3D84022 180001A4
	v_accvgpr_read_b32 v35, a165                               // 000000010368: D3D84023 180001A5
	v_pk_mul_f32 v[34:35], v[32:33], v[34:35]                  // 000000010370: D3B14022 18024520
	v_accvgpr_write_b32 a164, v34                              // 000000010378: D3D940A4 18000122
	v_accvgpr_write_b32 a165, v35                              // 000000010380: D3D940A5 18000123
	v_accvgpr_read_b32 v34, a166                               // 000000010388: D3D84022 180001A6
	v_accvgpr_read_b32 v35, a167                               // 000000010390: D3D84023 180001A7
	v_pk_mul_f32 v[34:35], v[32:33], v[34:35]                  // 000000010398: D3B14022 18024520
	v_accvgpr_write_b32 a166, v34                              // 0000000103A0: D3D940A6 18000122
	v_accvgpr_write_b32 a167, v35                              // 0000000103A8: D3D940A7 18000123
	v_accvgpr_read_b32 v34, a168                               // 0000000103B0: D3D84022 180001A8
	v_accvgpr_read_b32 v35, a169                               // 0000000103B8: D3D84023 180001A9
	v_pk_mul_f32 v[34:35], v[32:33], v[34:35]                  // 0000000103C0: D3B14022 18024520
	v_accvgpr_write_b32 a168, v34                              // 0000000103C8: D3D940A8 18000122
	v_accvgpr_write_b32 a169, v35                              // 0000000103D0: D3D940A9 18000123
	v_accvgpr_read_b32 v34, a170                               // 0000000103D8: D3D84022 180001AA
	v_accvgpr_read_b32 v35, a171                               // 0000000103E0: D3D84023 180001AB
	v_pk_mul_f32 v[34:35], v[32:33], v[34:35]                  // 0000000103E8: D3B14022 18024520
	v_accvgpr_write_b32 a170, v34                              // 0000000103F0: D3D940AA 18000122
	v_accvgpr_write_b32 a171, v35                              // 0000000103F8: D3D940AB 18000123
	v_accvgpr_read_b32 v34, a172                               // 000000010400: D3D84022 180001AC
	v_accvgpr_read_b32 v35, a173                               // 000000010408: D3D84023 180001AD
	v_pk_mul_f32 v[34:35], v[32:33], v[34:35]                  // 000000010410: D3B14022 18024520
	v_accvgpr_write_b32 a172, v34                              // 000000010418: D3D940AC 18000122
	v_accvgpr_write_b32 a173, v35                              // 000000010420: D3D940AD 18000123
	v_accvgpr_read_b32 v34, a174                               // 000000010428: D3D84022 180001AE
	v_accvgpr_read_b32 v35, a175                               // 000000010430: D3D84023 180001AF
	v_pk_mul_f32 v[34:35], v[32:33], v[34:35]                  // 000000010438: D3B14022 18024520
	v_accvgpr_write_b32 a174, v34                              // 000000010440: D3D940AE 18000122
	v_accvgpr_write_b32 a175, v35                              // 000000010448: D3D940AF 18000123
	v_accvgpr_read_b32 v34, a176                               // 000000010450: D3D84022 180001B0
	v_accvgpr_read_b32 v35, a177                               // 000000010458: D3D84023 180001B1
	v_pk_mul_f32 v[34:35], v[32:33], v[34:35]                  // 000000010460: D3B14022 18024520
	v_accvgpr_write_b32 a176, v34                              // 000000010468: D3D940B0 18000122
	v_accvgpr_write_b32 a177, v35                              // 000000010470: D3D940B1 18000123
	v_accvgpr_read_b32 v34, a178                               // 000000010478: D3D84022 180001B2
	v_accvgpr_read_b32 v35, a179                               // 000000010480: D3D84023 180001B3
	v_pk_mul_f32 v[34:35], v[32:33], v[34:35]                  // 000000010488: D3B14022 18024520
	v_accvgpr_write_b32 a178, v34                              // 000000010490: D3D940B2 18000122
	v_accvgpr_write_b32 a179, v35                              // 000000010498: D3D940B3 18000123
	v_accvgpr_read_b32 v34, a180                               // 0000000104A0: D3D84022 180001B4
	v_accvgpr_read_b32 v35, a181                               // 0000000104A8: D3D84023 180001B5
	v_pk_mul_f32 v[34:35], v[32:33], v[34:35]                  // 0000000104B0: D3B14022 18024520
	v_accvgpr_write_b32 a180, v34                              // 0000000104B8: D3D940B4 18000122
	v_accvgpr_write_b32 a181, v35                              // 0000000104C0: D3D940B5 18000123
	v_accvgpr_read_b32 v34, a182                               // 0000000104C8: D3D84022 180001B6
	v_accvgpr_read_b32 v35, a183                               // 0000000104D0: D3D84023 180001B7
	v_pk_mul_f32 v[34:35], v[32:33], v[34:35]                  // 0000000104D8: D3B14022 18024520
	v_accvgpr_write_b32 a182, v34                              // 0000000104E0: D3D940B6 18000122
	v_accvgpr_write_b32 a183, v35                              // 0000000104E8: D3D940B7 18000123
	v_accvgpr_read_b32 v34, a184                               // 0000000104F0: D3D84022 180001B8
	v_accvgpr_read_b32 v35, a185                               // 0000000104F8: D3D84023 180001B9
	v_pk_mul_f32 v[34:35], v[32:33], v[34:35]                  // 000000010500: D3B14022 18024520
	v_accvgpr_write_b32 a184, v34                              // 000000010508: D3D940B8 18000122
	v_accvgpr_write_b32 a185, v35                              // 000000010510: D3D940B9 18000123
	v_accvgpr_read_b32 v34, a186                               // 000000010518: D3D84022 180001BA
	v_accvgpr_read_b32 v35, a187                               // 000000010520: D3D84023 180001BB
	v_pk_mul_f32 v[34:35], v[32:33], v[34:35]                  // 000000010528: D3B14022 18024520
	v_accvgpr_write_b32 a186, v34                              // 000000010530: D3D940BA 18000122
	v_accvgpr_write_b32 a187, v35                              // 000000010538: D3D940BB 18000123
	v_accvgpr_read_b32 v34, a188                               // 000000010540: D3D84022 180001BC
	v_accvgpr_read_b32 v35, a189                               // 000000010548: D3D84023 180001BD
	v_pk_mul_f32 v[34:35], v[32:33], v[34:35]                  // 000000010550: D3B14022 18024520
	v_accvgpr_write_b32 a188, v34                              // 000000010558: D3D940BC 18000122
	v_accvgpr_write_b32 a189, v35                              // 000000010560: D3D940BD 18000123
	v_accvgpr_read_b32 v34, a190                               // 000000010568: D3D84022 180001BE
	v_accvgpr_read_b32 v35, a191                               // 000000010570: D3D84023 180001BF
	v_pk_mul_f32 v[34:35], v[32:33], v[34:35]                  // 000000010578: D3B14022 18024520
	v_accvgpr_write_b32 a190, v34                              // 000000010580: D3D940BE 18000122
	v_accvgpr_write_b32 a191, v35                              // 000000010588: D3D940BF 18000123
	v_accvgpr_read_b32 v34, a192                               // 000000010590: D3D84022 180001C0
	v_accvgpr_read_b32 v35, a193                               // 000000010598: D3D84023 180001C1
	v_pk_mul_f32 v[34:35], v[32:33], v[34:35]                  // 0000000105A0: D3B14022 18024520
	v_accvgpr_write_b32 a192, v34                              // 0000000105A8: D3D940C0 18000122
	v_accvgpr_write_b32 a193, v35                              // 0000000105B0: D3D940C1 18000123
	v_accvgpr_read_b32 v34, a194                               // 0000000105B8: D3D84022 180001C2
	v_accvgpr_read_b32 v35, a195                               // 0000000105C0: D3D84023 180001C3
	v_pk_mul_f32 v[34:35], v[32:33], v[34:35]                  // 0000000105C8: D3B14022 18024520
	v_accvgpr_write_b32 a194, v34                              // 0000000105D0: D3D940C2 18000122
	v_accvgpr_write_b32 a195, v35                              // 0000000105D8: D3D940C3 18000123
	v_accvgpr_read_b32 v34, a196                               // 0000000105E0: D3D84022 180001C4
	v_accvgpr_read_b32 v35, a197                               // 0000000105E8: D3D84023 180001C5
	v_pk_mul_f32 v[34:35], v[32:33], v[34:35]                  // 0000000105F0: D3B14022 18024520
	v_accvgpr_write_b32 a196, v34                              // 0000000105F8: D3D940C4 18000122
	v_accvgpr_write_b32 a197, v35                              // 000000010600: D3D940C5 18000123
	v_accvgpr_read_b32 v34, a198                               // 000000010608: D3D84022 180001C6
	v_accvgpr_read_b32 v35, a199                               // 000000010610: D3D84023 180001C7
	v_pk_mul_f32 v[34:35], v[32:33], v[34:35]                  // 000000010618: D3B14022 18024520
	v_accvgpr_write_b32 a198, v34                              // 000000010620: D3D940C6 18000122
	v_accvgpr_write_b32 a199, v35                              // 000000010628: D3D940C7 18000123
	v_accvgpr_read_b32 v34, a200                               // 000000010630: D3D84022 180001C8
	v_accvgpr_read_b32 v35, a201                               // 000000010638: D3D84023 180001C9
	v_pk_mul_f32 v[34:35], v[32:33], v[34:35]                  // 000000010640: D3B14022 18024520
	v_accvgpr_write_b32 a200, v34                              // 000000010648: D3D940C8 18000122
	v_accvgpr_write_b32 a201, v35                              // 000000010650: D3D940C9 18000123
	v_accvgpr_read_b32 v34, a202                               // 000000010658: D3D84022 180001CA
	v_accvgpr_read_b32 v35, a203                               // 000000010660: D3D84023 180001CB
	v_pk_mul_f32 v[34:35], v[32:33], v[34:35]                  // 000000010668: D3B14022 18024520
	v_accvgpr_write_b32 a202, v34                              // 000000010670: D3D940CA 18000122
	v_accvgpr_write_b32 a203, v35                              // 000000010678: D3D940CB 18000123
	v_accvgpr_read_b32 v34, a204                               // 000000010680: D3D84022 180001CC
	v_accvgpr_read_b32 v35, a205                               // 000000010688: D3D84023 180001CD
	v_pk_mul_f32 v[34:35], v[32:33], v[34:35]                  // 000000010690: D3B14022 18024520
	v_accvgpr_write_b32 a204, v34                              // 000000010698: D3D940CC 18000122
	v_accvgpr_write_b32 a205, v35                              // 0000000106A0: D3D940CD 18000123
	v_accvgpr_read_b32 v34, a206                               // 0000000106A8: D3D84022 180001CE
	v_accvgpr_read_b32 v35, a207                               // 0000000106B0: D3D84023 180001CF
	v_pk_mul_f32 v[34:35], v[32:33], v[34:35]                  // 0000000106B8: D3B14022 18024520
	v_accvgpr_write_b32 a206, v34                              // 0000000106C0: D3D940CE 18000122
	v_accvgpr_write_b32 a207, v35                              // 0000000106C8: D3D940CF 18000123
	v_accvgpr_read_b32 v34, a208                               // 0000000106D0: D3D84022 180001D0
	v_accvgpr_read_b32 v35, a209                               // 0000000106D8: D3D84023 180001D1
	v_pk_mul_f32 v[34:35], v[32:33], v[34:35]                  // 0000000106E0: D3B14022 18024520
	v_accvgpr_write_b32 a208, v34                              // 0000000106E8: D3D940D0 18000122
	v_accvgpr_write_b32 a209, v35                              // 0000000106F0: D3D940D1 18000123
	v_accvgpr_read_b32 v34, a210                               // 0000000106F8: D3D84022 180001D2
	v_accvgpr_read_b32 v35, a211                               // 000000010700: D3D84023 180001D3
	v_pk_mul_f32 v[34:35], v[32:33], v[34:35]                  // 000000010708: D3B14022 18024520
	v_accvgpr_write_b32 a210, v34                              // 000000010710: D3D940D2 18000122
	v_accvgpr_write_b32 a211, v35                              // 000000010718: D3D940D3 18000123
	v_accvgpr_read_b32 v34, a212                               // 000000010720: D3D84022 180001D4
	v_accvgpr_read_b32 v35, a213                               // 000000010728: D3D84023 180001D5
	v_pk_mul_f32 v[34:35], v[32:33], v[34:35]                  // 000000010730: D3B14022 18024520
	v_accvgpr_write_b32 a212, v34                              // 000000010738: D3D940D4 18000122
	v_accvgpr_write_b32 a213, v35                              // 000000010740: D3D940D5 18000123
	v_accvgpr_read_b32 v34, a214                               // 000000010748: D3D84022 180001D6
	v_accvgpr_read_b32 v35, a215                               // 000000010750: D3D84023 180001D7
	v_pk_mul_f32 v[34:35], v[32:33], v[34:35]                  // 000000010758: D3B14022 18024520
	v_accvgpr_write_b32 a214, v34                              // 000000010760: D3D940D6 18000122
	v_accvgpr_write_b32 a215, v35                              // 000000010768: D3D940D7 18000123
	v_accvgpr_read_b32 v34, a216                               // 000000010770: D3D84022 180001D8
	v_accvgpr_read_b32 v35, a217                               // 000000010778: D3D84023 180001D9
	v_pk_mul_f32 v[34:35], v[32:33], v[34:35]                  // 000000010780: D3B14022 18024520
	v_accvgpr_write_b32 a216, v34                              // 000000010788: D3D940D8 18000122
	v_accvgpr_write_b32 a217, v35                              // 000000010790: D3D940D9 18000123
	v_accvgpr_read_b32 v34, a218                               // 000000010798: D3D84022 180001DA
	v_accvgpr_read_b32 v35, a219                               // 0000000107A0: D3D84023 180001DB
	v_pk_mul_f32 v[34:35], v[32:33], v[34:35]                  // 0000000107A8: D3B14022 18024520
	v_accvgpr_write_b32 a218, v34                              // 0000000107B0: D3D940DA 18000122
	v_accvgpr_write_b32 a219, v35                              // 0000000107B8: D3D940DB 18000123
	v_accvgpr_read_b32 v34, a220                               // 0000000107C0: D3D84022 180001DC
	v_accvgpr_read_b32 v35, a221                               // 0000000107C8: D3D84023 180001DD
	v_pk_mul_f32 v[34:35], v[32:33], v[34:35]                  // 0000000107D0: D3B14022 18024520
	v_accvgpr_write_b32 a220, v34                              // 0000000107D8: D3D940DC 18000122
	v_accvgpr_write_b32 a221, v35                              // 0000000107E0: D3D940DD 18000123
	v_accvgpr_read_b32 v34, a222                               // 0000000107E8: D3D84022 180001DE
	v_accvgpr_read_b32 v35, a223                               // 0000000107F0: D3D84023 180001DF
	v_pk_mul_f32 v[34:35], v[32:33], v[34:35]                  // 0000000107F8: D3B14022 18024520
	v_accvgpr_write_b32 a222, v34                              // 000000010800: D3D940DE 18000122
	v_accvgpr_write_b32 a223, v35                              // 000000010808: D3D940DF 18000123
	v_accvgpr_read_b32 v34, a224                               // 000000010810: D3D84022 180001E0
	v_accvgpr_read_b32 v35, a225                               // 000000010818: D3D84023 180001E1
	v_pk_mul_f32 v[34:35], v[32:33], v[34:35]                  // 000000010820: D3B14022 18024520
	v_accvgpr_write_b32 a224, v34                              // 000000010828: D3D940E0 18000122
	v_accvgpr_write_b32 a225, v35                              // 000000010830: D3D940E1 18000123
	v_accvgpr_read_b32 v34, a226                               // 000000010838: D3D84022 180001E2
	v_accvgpr_read_b32 v35, a227                               // 000000010840: D3D84023 180001E3
	v_pk_mul_f32 v[34:35], v[32:33], v[34:35]                  // 000000010848: D3B14022 18024520
	v_accvgpr_write_b32 a226, v34                              // 000000010850: D3D940E2 18000122
	v_accvgpr_write_b32 a227, v35                              // 000000010858: D3D940E3 18000123
	v_accvgpr_read_b32 v34, a228                               // 000000010860: D3D84022 180001E4
	v_accvgpr_read_b32 v35, a229                               // 000000010868: D3D84023 180001E5
	v_pk_mul_f32 v[34:35], v[32:33], v[34:35]                  // 000000010870: D3B14022 18024520
	v_accvgpr_write_b32 a228, v34                              // 000000010878: D3D940E4 18000122
	v_accvgpr_write_b32 a229, v35                              // 000000010880: D3D940E5 18000123
	v_accvgpr_read_b32 v34, a230                               // 000000010888: D3D84022 180001E6
	v_accvgpr_read_b32 v35, a231                               // 000000010890: D3D84023 180001E7
	v_pk_mul_f32 v[34:35], v[32:33], v[34:35]                  // 000000010898: D3B14022 18024520
	v_accvgpr_write_b32 a230, v34                              // 0000000108A0: D3D940E6 18000122
	v_accvgpr_write_b32 a231, v35                              // 0000000108A8: D3D940E7 18000123
	v_accvgpr_read_b32 v34, a232                               // 0000000108B0: D3D84022 180001E8
	v_accvgpr_read_b32 v35, a233                               // 0000000108B8: D3D84023 180001E9
	v_pk_mul_f32 v[34:35], v[32:33], v[34:35]                  // 0000000108C0: D3B14022 18024520
	v_accvgpr_write_b32 a232, v34                              // 0000000108C8: D3D940E8 18000122
	v_accvgpr_write_b32 a233, v35                              // 0000000108D0: D3D940E9 18000123
	v_accvgpr_read_b32 v34, a234                               // 0000000108D8: D3D84022 180001EA
	v_accvgpr_read_b32 v35, a235                               // 0000000108E0: D3D84023 180001EB
	v_pk_mul_f32 v[34:35], v[32:33], v[34:35]                  // 0000000108E8: D3B14022 18024520
	v_accvgpr_write_b32 a234, v34                              // 0000000108F0: D3D940EA 18000122
	v_accvgpr_write_b32 a235, v35                              // 0000000108F8: D3D940EB 18000123
	v_accvgpr_read_b32 v34, a236                               // 000000010900: D3D84022 180001EC
	v_accvgpr_read_b32 v35, a237                               // 000000010908: D3D84023 180001ED
	v_pk_mul_f32 v[34:35], v[32:33], v[34:35]                  // 000000010910: D3B14022 18024520
	v_accvgpr_write_b32 a236, v34                              // 000000010918: D3D940EC 18000122
	v_accvgpr_write_b32 a237, v35                              // 000000010920: D3D940ED 18000123
	v_accvgpr_read_b32 v34, a238                               // 000000010928: D3D84022 180001EE
	v_accvgpr_read_b32 v35, a239                               // 000000010930: D3D84023 180001EF
	v_pk_mul_f32 v[34:35], v[32:33], v[34:35]                  // 000000010938: D3B14022 18024520
	v_accvgpr_write_b32 a238, v34                              // 000000010940: D3D940EE 18000122
	v_accvgpr_write_b32 a239, v35                              // 000000010948: D3D940EF 18000123
	s_cmp_lt_i32 s87, 0                                        // 000000010950: BF048057
	s_cbranch_scc1 label_FA84                                  // 000000010954: BF850489
	s_mul_i32 s75, 0x800, s90                                  // 000000010958: 924B5AFF 00000800
	s_mul_i32 s56, s87, s75                                    // 000000010960: 92384B57
	s_add_u32 s8, s56, s8                                      // 000000010964: 80080838
	s_addc_u32 s9, 0, s9                                       // 000000010968: 82090980
	s_mul_i32 s56, s75, s81                                    // 00000001096C: 9238514B
	s_mov_b32 s10, s56                                         // 000000010970: BE8A0038
	s_mul_i32 s56, s75, s81                                    // 000000010974: 9238514B
	s_mov_b32 s10, s56                                         // 000000010978: BE8A0038
	s_mul_i32 s56, s7, 0x10000                                 // 00000001097C: 9238FF07 00010000
	v_lshrrev_b32_e32 v7, 2, v0                                // 000000010984: 200E0082
	s_mov_b32 s57, 0x800                                       // 000000010988: BEB900FF 00000800
	v_mul_i32_i24_e32 v7, s57, v7                              // 000000010990: 0C0E0E39
	v_and_b32_e32 v28, 3, v0                                   // 000000010994: 26380083
	v_lshlrev_b32_e32 v28, 4, v28                              // 000000010998: 24383884
	v_add_u32_e32 v7, v28, v7                                  // 00000001099C: 680E0F1C
	v_add_u32_e32 v7, s56, v7                                  // 0000000109A0: 680E0E38
	s_mov_b32 s57, 0x8000                                      // 0000000109A4: BEB900FF 00008000
	v_add_u32_e32 v8, s57, v7                                  // 0000000109AC: 68100E39
	s_mul_i32 s57, 4, s90                                      // 0000000109B0: 92395A84
	s_mul_i32 s56, s87, s57                                    // 0000000109B4: 92383957
	s_add_u32 s12, s56, s12                                    // 0000000109B8: 800C0C38
	s_addc_u32 s13, 0, s13                                     // 0000000109BC: 820D0D80
	s_mul_i32 s56, s81, s57                                    // 0000000109C0: 92383951
	s_mov_b32 s14, s56                                         // 0000000109C4: BE8E0038
	v_and_b32_e32 v9, 31, v0                                   // 0000000109C8: 2612009F
	v_lshlrev_b32_e32 v9, 2, v9                                // 0000000109CC: 24121282
	s_mul_i32 s56, s7, 0x80                                    // 0000000109D0: 9238FF07 00000080
	v_add_u32_e64 v9, v9, s56                                  // 0000000109D8: D1340009 00007109
	v_and_b32_e32 v28, 1, v0                                   // 0000000109E0: 26380081
	v_lshlrev_b32_e32 v28, 5, v28                              // 0000000109E4: 24383885
	v_and_b32_e32 v29, 3, v0                                   // 0000000109E8: 263A0083
	v_lshrrev_b32_e32 v29, 1, v29                              // 0000000109EC: 203A3A81
	v_lshlrev_b32_e32 v29, 4, v29                              // 0000000109F0: 243A3A84
	v_add_u32_e32 v28, v28, v29                                // 0000000109F4: 68383B1C
	v_lshrrev_b32_e32 v29, 2, v0                               // 0000000109F8: 203A0082
	v_add_u32_e32 v28, v28, v29                                // 0000000109FC: 68383B1C
	v_lshlrev_b32_e32 v28, 2, v28                              // 000000010A00: 24383882
	v_lshlrev_b32_e32 v30, 4, v0                               // 000000010A04: 243C0084
	v_permlane16_swap_b32_e32 v64, v68                         // 000000010A08: 7E80B344
	v_permlane16_swap_b32_e32 v65, v69                         // 000000010A0C: 7E82B345
	v_permlane16_swap_b32_e32 v66, v70                         // 000000010A10: 7E84B346
	v_permlane16_swap_b32_e32 v67, v71                         // 000000010A14: 7E86B347
	ds_bpermute_b32 v32, v28, v64                              // 000000010A18: D87E0000 2000401C
	ds_bpermute_b32 v33, v28, v65                              // 000000010A20: D87E0000 2100411C
	ds_bpermute_b32 v34, v28, v66                              // 000000010A28: D87E0000 2200421C
	ds_bpermute_b32 v35, v28, v67                              // 000000010A30: D87E0000 2300431C
	ds_bpermute_b32 v36, v28, v68                              // 000000010A38: D87E0000 2400441C
	ds_bpermute_b32 v37, v28, v69                              // 000000010A40: D87E0000 2500451C
	ds_bpermute_b32 v38, v28, v70                              // 000000010A48: D87E0000 2600461C
	ds_bpermute_b32 v39, v28, v71                              // 000000010A50: D87E0000 2700471C
	v_permlane16_swap_b32_e32 v72, v76                         // 000000010A58: 7E90B34C
	v_permlane16_swap_b32_e32 v73, v77                         // 000000010A5C: 7E92B34D
	v_permlane16_swap_b32_e32 v74, v78                         // 000000010A60: 7E94B34E
	v_permlane16_swap_b32_e32 v75, v79                         // 000000010A64: 7E96B34F
	ds_bpermute_b32 v40, v28, v72                              // 000000010A68: D87E0000 2800481C
	ds_bpermute_b32 v41, v28, v73                              // 000000010A70: D87E0000 2900491C
	ds_bpermute_b32 v42, v28, v74                              // 000000010A78: D87E0000 2A004A1C
	ds_bpermute_b32 v43, v28, v75                              // 000000010A80: D87E0000 2B004B1C
	ds_bpermute_b32 v44, v28, v76                              // 000000010A88: D87E0000 2C004C1C
	ds_bpermute_b32 v45, v28, v77                              // 000000010A90: D87E0000 2D004D1C
	ds_bpermute_b32 v46, v28, v78                              // 000000010A98: D87E0000 2E004E1C
	ds_bpermute_b32 v47, v28, v79                              // 000000010AA0: D87E0000 2F004F1C
	s_waitcnt lgkmcnt(12)                                      // 000000010AA8: BF8CCC7F
	buffer_store_dwordx4 v[32:35], v7, s[8:11], 0 offen        // 000000010AAC: E07C1000 80022007
	s_waitcnt lgkmcnt(8)                                       // 000000010AB4: BF8CC87F
	buffer_store_dwordx4 v[36:39], v8, s[8:11], 0 offen        // 000000010AB8: E07C1000 80022408
	s_mov_b32 s56, 64                                          // 000000010AC0: BEB800C0
	v_add_u32_e32 v7, s56, v7                                  // 000000010AC4: 680E0E38
	v_add_u32_e32 v8, s56, v8                                  // 000000010AC8: 68101038
	s_waitcnt lgkmcnt(4)                                       // 000000010ACC: BF8CC47F
	buffer_store_dwordx4 v[40:43], v7, s[8:11], 0 offen        // 000000010AD0: E07C1000 80022807
	s_waitcnt lgkmcnt(0)                                       // 000000010AD8: BF8CC07F
	buffer_store_dwordx4 v[44:47], v8, s[8:11], 0 offen        // 000000010ADC: E07C1000 80022C08
	v_add_u32_e32 v7, s56, v7                                  // 000000010AE4: 680E0E38
	v_add_u32_e32 v8, s56, v8                                  // 000000010AE8: 68101038
	v_permlane16_swap_b32_e32 v80, v84                         // 000000010AEC: 7EA0B354
	v_permlane16_swap_b32_e32 v81, v85                         // 000000010AF0: 7EA2B355
	v_permlane16_swap_b32_e32 v82, v86                         // 000000010AF4: 7EA4B356
	v_permlane16_swap_b32_e32 v83, v87                         // 000000010AF8: 7EA6B357
	ds_bpermute_b32 v32, v28, v80                              // 000000010AFC: D87E0000 2000501C
	ds_bpermute_b32 v33, v28, v81                              // 000000010B04: D87E0000 2100511C
	ds_bpermute_b32 v34, v28, v82                              // 000000010B0C: D87E0000 2200521C
	ds_bpermute_b32 v35, v28, v83                              // 000000010B14: D87E0000 2300531C
	ds_bpermute_b32 v36, v28, v84                              // 000000010B1C: D87E0000 2400541C
	ds_bpermute_b32 v37, v28, v85                              // 000000010B24: D87E0000 2500551C
	ds_bpermute_b32 v38, v28, v86                              // 000000010B2C: D87E0000 2600561C
	ds_bpermute_b32 v39, v28, v87                              // 000000010B34: D87E0000 2700571C
	v_permlane16_swap_b32_e32 v88, v92                         // 000000010B3C: 7EB0B35C
	v_permlane16_swap_b32_e32 v89, v93                         // 000000010B40: 7EB2B35D
	v_permlane16_swap_b32_e32 v90, v94                         // 000000010B44: 7EB4B35E
	v_permlane16_swap_b32_e32 v91, v95                         // 000000010B48: 7EB6B35F
	ds_bpermute_b32 v40, v28, v88                              // 000000010B4C: D87E0000 2800581C
	ds_bpermute_b32 v41, v28, v89                              // 000000010B54: D87E0000 2900591C
	ds_bpermute_b32 v42, v28, v90                              // 000000010B5C: D87E0000 2A005A1C
	ds_bpermute_b32 v43, v28, v91                              // 000000010B64: D87E0000 2B005B1C
	ds_bpermute_b32 v44, v28, v92                              // 000000010B6C: D87E0000 2C005C1C
	ds_bpermute_b32 v45, v28, v93                              // 000000010B74: D87E0000 2D005D1C
	ds_bpermute_b32 v46, v28, v94                              // 000000010B7C: D87E0000 2E005E1C
	ds_bpermute_b32 v47, v28, v95                              // 000000010B84: D87E0000 2F005F1C
	s_waitcnt lgkmcnt(12)                                      // 000000010B8C: BF8CCC7F
	buffer_store_dwordx4 v[32:35], v7, s[8:11], 0 offen        // 000000010B90: E07C1000 80022007
	s_waitcnt lgkmcnt(8)                                       // 000000010B98: BF8CC87F
	buffer_store_dwordx4 v[36:39], v8, s[8:11], 0 offen        // 000000010B9C: E07C1000 80022408
	s_mov_b32 s56, 64                                          // 000000010BA4: BEB800C0
	v_add_u32_e32 v7, s56, v7                                  // 000000010BA8: 680E0E38
	v_add_u32_e32 v8, s56, v8                                  // 000000010BAC: 68101038
	s_waitcnt lgkmcnt(4)                                       // 000000010BB0: BF8CC47F
	buffer_store_dwordx4 v[40:43], v7, s[8:11], 0 offen        // 000000010BB4: E07C1000 80022807
	s_waitcnt lgkmcnt(0)                                       // 000000010BBC: BF8CC07F
	buffer_store_dwordx4 v[44:47], v8, s[8:11], 0 offen        // 000000010BC0: E07C1000 80022C08
	v_add_u32_e32 v7, s56, v7                                  // 000000010BC8: 680E0E38
	v_add_u32_e32 v8, s56, v8                                  // 000000010BCC: 68101038
	v_permlane16_swap_b32_e32 v96, v100                        // 000000010BD0: 7EC0B364
	v_permlane16_swap_b32_e32 v97, v101                        // 000000010BD4: 7EC2B365
	v_permlane16_swap_b32_e32 v98, v102                        // 000000010BD8: 7EC4B366
	v_permlane16_swap_b32_e32 v99, v103                        // 000000010BDC: 7EC6B367
	ds_bpermute_b32 v32, v28, v96                              // 000000010BE0: D87E0000 2000601C
	ds_bpermute_b32 v33, v28, v97                              // 000000010BE8: D87E0000 2100611C
	ds_bpermute_b32 v34, v28, v98                              // 000000010BF0: D87E0000 2200621C
	ds_bpermute_b32 v35, v28, v99                              // 000000010BF8: D87E0000 2300631C
	ds_bpermute_b32 v36, v28, v100                             // 000000010C00: D87E0000 2400641C
	ds_bpermute_b32 v37, v28, v101                             // 000000010C08: D87E0000 2500651C
	ds_bpermute_b32 v38, v28, v102                             // 000000010C10: D87E0000 2600661C
	ds_bpermute_b32 v39, v28, v103                             // 000000010C18: D87E0000 2700671C
	v_permlane16_swap_b32_e32 v104, v108                       // 000000010C20: 7ED0B36C
	v_permlane16_swap_b32_e32 v105, v109                       // 000000010C24: 7ED2B36D
	v_permlane16_swap_b32_e32 v106, v110                       // 000000010C28: 7ED4B36E
	v_permlane16_swap_b32_e32 v107, v111                       // 000000010C2C: 7ED6B36F
	ds_bpermute_b32 v40, v28, v104                             // 000000010C30: D87E0000 2800681C
	ds_bpermute_b32 v41, v28, v105                             // 000000010C38: D87E0000 2900691C
	ds_bpermute_b32 v42, v28, v106                             // 000000010C40: D87E0000 2A006A1C
	ds_bpermute_b32 v43, v28, v107                             // 000000010C48: D87E0000 2B006B1C
	ds_bpermute_b32 v44, v28, v108                             // 000000010C50: D87E0000 2C006C1C
	ds_bpermute_b32 v45, v28, v109                             // 000000010C58: D87E0000 2D006D1C
	ds_bpermute_b32 v46, v28, v110                             // 000000010C60: D87E0000 2E006E1C
	ds_bpermute_b32 v47, v28, v111                             // 000000010C68: D87E0000 2F006F1C
	s_waitcnt lgkmcnt(12)                                      // 000000010C70: BF8CCC7F
	buffer_store_dwordx4 v[32:35], v7, s[8:11], 0 offen        // 000000010C74: E07C1000 80022007
	s_waitcnt lgkmcnt(8)                                       // 000000010C7C: BF8CC87F
	buffer_store_dwordx4 v[36:39], v8, s[8:11], 0 offen        // 000000010C80: E07C1000 80022408
	s_mov_b32 s56, 64                                          // 000000010C88: BEB800C0
	v_add_u32_e32 v7, s56, v7                                  // 000000010C8C: 680E0E38
	v_add_u32_e32 v8, s56, v8                                  // 000000010C90: 68101038
	s_waitcnt lgkmcnt(4)                                       // 000000010C94: BF8CC47F
	buffer_store_dwordx4 v[40:43], v7, s[8:11], 0 offen        // 000000010C98: E07C1000 80022807
	s_waitcnt lgkmcnt(0)                                       // 000000010CA0: BF8CC07F
	buffer_store_dwordx4 v[44:47], v8, s[8:11], 0 offen        // 000000010CA4: E07C1000 80022C08
	v_add_u32_e32 v7, s56, v7                                  // 000000010CAC: 680E0E38
	v_add_u32_e32 v8, s56, v8                                  // 000000010CB0: 68101038
	v_permlane16_swap_b32_e32 v112, v116                       // 000000010CB4: 7EE0B374
	v_permlane16_swap_b32_e32 v113, v117                       // 000000010CB8: 7EE2B375
	v_permlane16_swap_b32_e32 v114, v118                       // 000000010CBC: 7EE4B376
	v_permlane16_swap_b32_e32 v115, v119                       // 000000010CC0: 7EE6B377
	ds_bpermute_b32 v32, v28, v112                             // 000000010CC4: D87E0000 2000701C
	ds_bpermute_b32 v33, v28, v113                             // 000000010CCC: D87E0000 2100711C
	ds_bpermute_b32 v34, v28, v114                             // 000000010CD4: D87E0000 2200721C
	ds_bpermute_b32 v35, v28, v115                             // 000000010CDC: D87E0000 2300731C
	ds_bpermute_b32 v36, v28, v116                             // 000000010CE4: D87E0000 2400741C
	ds_bpermute_b32 v37, v28, v117                             // 000000010CEC: D87E0000 2500751C
	ds_bpermute_b32 v38, v28, v118                             // 000000010CF4: D87E0000 2600761C
	ds_bpermute_b32 v39, v28, v119                             // 000000010CFC: D87E0000 2700771C
	v_permlane16_swap_b32_e32 v120, v124                       // 000000010D04: 7EF0B37C
	v_permlane16_swap_b32_e32 v121, v125                       // 000000010D08: 7EF2B37D
	v_permlane16_swap_b32_e32 v122, v126                       // 000000010D0C: 7EF4B37E
	v_permlane16_swap_b32_e32 v123, v127                       // 000000010D10: 7EF6B37F
	ds_bpermute_b32 v40, v28, v120                             // 000000010D14: D87E0000 2800781C
	ds_bpermute_b32 v41, v28, v121                             // 000000010D1C: D87E0000 2900791C
	ds_bpermute_b32 v42, v28, v122                             // 000000010D24: D87E0000 2A007A1C
	ds_bpermute_b32 v43, v28, v123                             // 000000010D2C: D87E0000 2B007B1C
	ds_bpermute_b32 v44, v28, v124                             // 000000010D34: D87E0000 2C007C1C
	ds_bpermute_b32 v45, v28, v125                             // 000000010D3C: D87E0000 2D007D1C
	ds_bpermute_b32 v46, v28, v126                             // 000000010D44: D87E0000 2E007E1C
	ds_bpermute_b32 v47, v28, v127                             // 000000010D4C: D87E0000 2F007F1C
	s_waitcnt lgkmcnt(12)                                      // 000000010D54: BF8CCC7F
	buffer_store_dwordx4 v[32:35], v7, s[8:11], 0 offen        // 000000010D58: E07C1000 80022007
	s_waitcnt lgkmcnt(8)                                       // 000000010D60: BF8CC87F
	buffer_store_dwordx4 v[36:39], v8, s[8:11], 0 offen        // 000000010D64: E07C1000 80022408
	s_mov_b32 s56, 64                                          // 000000010D6C: BEB800C0
	v_add_u32_e32 v7, s56, v7                                  // 000000010D70: 680E0E38
	v_add_u32_e32 v8, s56, v8                                  // 000000010D74: 68101038
	s_waitcnt lgkmcnt(4)                                       // 000000010D78: BF8CC47F
	buffer_store_dwordx4 v[40:43], v7, s[8:11], 0 offen        // 000000010D7C: E07C1000 80022807
	s_waitcnt lgkmcnt(0)                                       // 000000010D84: BF8CC07F
	buffer_store_dwordx4 v[44:47], v8, s[8:11], 0 offen        // 000000010D88: E07C1000 80022C08
	v_add_u32_e32 v7, s56, v7                                  // 000000010D90: 680E0E38
	v_add_u32_e32 v8, s56, v8                                  // 000000010D94: 68101038
	v_permlane16_swap_b32_e32 v128, v132                       // 000000010D98: 7F00B384
	v_permlane16_swap_b32_e32 v129, v133                       // 000000010D9C: 7F02B385
	v_permlane16_swap_b32_e32 v130, v134                       // 000000010DA0: 7F04B386
	v_permlane16_swap_b32_e32 v131, v135                       // 000000010DA4: 7F06B387
	ds_bpermute_b32 v32, v28, v128                             // 000000010DA8: D87E0000 2000801C
	ds_bpermute_b32 v33, v28, v129                             // 000000010DB0: D87E0000 2100811C
	ds_bpermute_b32 v34, v28, v130                             // 000000010DB8: D87E0000 2200821C
	ds_bpermute_b32 v35, v28, v131                             // 000000010DC0: D87E0000 2300831C
	ds_bpermute_b32 v36, v28, v132                             // 000000010DC8: D87E0000 2400841C
	ds_bpermute_b32 v37, v28, v133                             // 000000010DD0: D87E0000 2500851C
	ds_bpermute_b32 v38, v28, v134                             // 000000010DD8: D87E0000 2600861C
	ds_bpermute_b32 v39, v28, v135                             // 000000010DE0: D87E0000 2700871C
	v_permlane16_swap_b32_e32 v136, v140                       // 000000010DE8: 7F10B38C
	v_permlane16_swap_b32_e32 v137, v141                       // 000000010DEC: 7F12B38D
	v_permlane16_swap_b32_e32 v138, v142                       // 000000010DF0: 7F14B38E
	v_permlane16_swap_b32_e32 v139, v143                       // 000000010DF4: 7F16B38F
	ds_bpermute_b32 v40, v28, v136                             // 000000010DF8: D87E0000 2800881C
	ds_bpermute_b32 v41, v28, v137                             // 000000010E00: D87E0000 2900891C
	ds_bpermute_b32 v42, v28, v138                             // 000000010E08: D87E0000 2A008A1C
	ds_bpermute_b32 v43, v28, v139                             // 000000010E10: D87E0000 2B008B1C
	ds_bpermute_b32 v44, v28, v140                             // 000000010E18: D87E0000 2C008C1C
	ds_bpermute_b32 v45, v28, v141                             // 000000010E20: D87E0000 2D008D1C
	ds_bpermute_b32 v46, v28, v142                             // 000000010E28: D87E0000 2E008E1C
	ds_bpermute_b32 v47, v28, v143                             // 000000010E30: D87E0000 2F008F1C
	s_waitcnt lgkmcnt(12)                                      // 000000010E38: BF8CCC7F
	buffer_store_dwordx4 v[32:35], v7, s[8:11], 0 offen        // 000000010E3C: E07C1000 80022007
	s_waitcnt lgkmcnt(8)                                       // 000000010E44: BF8CC87F
	buffer_store_dwordx4 v[36:39], v8, s[8:11], 0 offen        // 000000010E48: E07C1000 80022408
	s_mov_b32 s56, 64                                          // 000000010E50: BEB800C0
	v_add_u32_e32 v7, s56, v7                                  // 000000010E54: 680E0E38
	v_add_u32_e32 v8, s56, v8                                  // 000000010E58: 68101038
	s_waitcnt lgkmcnt(4)                                       // 000000010E5C: BF8CC47F
	buffer_store_dwordx4 v[40:43], v7, s[8:11], 0 offen        // 000000010E60: E07C1000 80022807
	s_waitcnt lgkmcnt(0)                                       // 000000010E68: BF8CC07F
	buffer_store_dwordx4 v[44:47], v8, s[8:11], 0 offen        // 000000010E6C: E07C1000 80022C08
	v_add_u32_e32 v7, s56, v7                                  // 000000010E74: 680E0E38
	v_add_u32_e32 v8, s56, v8                                  // 000000010E78: 68101038
	v_permlane16_swap_b32_e32 v144, v148                       // 000000010E7C: 7F20B394
	v_permlane16_swap_b32_e32 v145, v149                       // 000000010E80: 7F22B395
	v_permlane16_swap_b32_e32 v146, v150                       // 000000010E84: 7F24B396
	v_permlane16_swap_b32_e32 v147, v151                       // 000000010E88: 7F26B397
	ds_bpermute_b32 v32, v28, v144                             // 000000010E8C: D87E0000 2000901C
	ds_bpermute_b32 v33, v28, v145                             // 000000010E94: D87E0000 2100911C
	ds_bpermute_b32 v34, v28, v146                             // 000000010E9C: D87E0000 2200921C
	ds_bpermute_b32 v35, v28, v147                             // 000000010EA4: D87E0000 2300931C
	ds_bpermute_b32 v36, v28, v148                             // 000000010EAC: D87E0000 2400941C
	ds_bpermute_b32 v37, v28, v149                             // 000000010EB4: D87E0000 2500951C
	ds_bpermute_b32 v38, v28, v150                             // 000000010EBC: D87E0000 2600961C
	ds_bpermute_b32 v39, v28, v151                             // 000000010EC4: D87E0000 2700971C
	v_permlane16_swap_b32_e32 v152, v156                       // 000000010ECC: 7F30B39C
	v_permlane16_swap_b32_e32 v153, v157                       // 000000010ED0: 7F32B39D
	v_permlane16_swap_b32_e32 v154, v158                       // 000000010ED4: 7F34B39E
	v_permlane16_swap_b32_e32 v155, v159                       // 000000010ED8: 7F36B39F
	ds_bpermute_b32 v40, v28, v152                             // 000000010EDC: D87E0000 2800981C
	ds_bpermute_b32 v41, v28, v153                             // 000000010EE4: D87E0000 2900991C
	ds_bpermute_b32 v42, v28, v154                             // 000000010EEC: D87E0000 2A009A1C
	ds_bpermute_b32 v43, v28, v155                             // 000000010EF4: D87E0000 2B009B1C
	ds_bpermute_b32 v44, v28, v156                             // 000000010EFC: D87E0000 2C009C1C
	ds_bpermute_b32 v45, v28, v157                             // 000000010F04: D87E0000 2D009D1C
	ds_bpermute_b32 v46, v28, v158                             // 000000010F0C: D87E0000 2E009E1C
	ds_bpermute_b32 v47, v28, v159                             // 000000010F14: D87E0000 2F009F1C
	s_waitcnt lgkmcnt(12)                                      // 000000010F1C: BF8CCC7F
	buffer_store_dwordx4 v[32:35], v7, s[8:11], 0 offen        // 000000010F20: E07C1000 80022007
	s_waitcnt lgkmcnt(8)                                       // 000000010F28: BF8CC87F
	buffer_store_dwordx4 v[36:39], v8, s[8:11], 0 offen        // 000000010F2C: E07C1000 80022408
	s_mov_b32 s56, 64                                          // 000000010F34: BEB800C0
	v_add_u32_e32 v7, s56, v7                                  // 000000010F38: 680E0E38
	v_add_u32_e32 v8, s56, v8                                  // 000000010F3C: 68101038
	s_waitcnt lgkmcnt(4)                                       // 000000010F40: BF8CC47F
	buffer_store_dwordx4 v[40:43], v7, s[8:11], 0 offen        // 000000010F44: E07C1000 80022807
	s_waitcnt lgkmcnt(0)                                       // 000000010F4C: BF8CC07F
	buffer_store_dwordx4 v[44:47], v8, s[8:11], 0 offen        // 000000010F50: E07C1000 80022C08
	v_add_u32_e32 v7, s56, v7                                  // 000000010F58: 680E0E38
	v_add_u32_e32 v8, s56, v8                                  // 000000010F5C: 68101038
	v_permlane16_swap_b32_e32 v160, v164                       // 000000010F60: 7F40B3A4
	v_permlane16_swap_b32_e32 v161, v165                       // 000000010F64: 7F42B3A5
	v_permlane16_swap_b32_e32 v162, v166                       // 000000010F68: 7F44B3A6
	v_permlane16_swap_b32_e32 v163, v167                       // 000000010F6C: 7F46B3A7
	ds_bpermute_b32 v32, v28, v160                             // 000000010F70: D87E0000 2000A01C
	ds_bpermute_b32 v33, v28, v161                             // 000000010F78: D87E0000 2100A11C
	ds_bpermute_b32 v34, v28, v162                             // 000000010F80: D87E0000 2200A21C
	ds_bpermute_b32 v35, v28, v163                             // 000000010F88: D87E0000 2300A31C
	ds_bpermute_b32 v36, v28, v164                             // 000000010F90: D87E0000 2400A41C
	ds_bpermute_b32 v37, v28, v165                             // 000000010F98: D87E0000 2500A51C
	ds_bpermute_b32 v38, v28, v166                             // 000000010FA0: D87E0000 2600A61C
	ds_bpermute_b32 v39, v28, v167                             // 000000010FA8: D87E0000 2700A71C
	v_permlane16_swap_b32_e32 v168, v172                       // 000000010FB0: 7F50B3AC
	v_permlane16_swap_b32_e32 v169, v173                       // 000000010FB4: 7F52B3AD
	v_permlane16_swap_b32_e32 v170, v174                       // 000000010FB8: 7F54B3AE
	v_permlane16_swap_b32_e32 v171, v175                       // 000000010FBC: 7F56B3AF
	ds_bpermute_b32 v40, v28, v168                             // 000000010FC0: D87E0000 2800A81C
	ds_bpermute_b32 v41, v28, v169                             // 000000010FC8: D87E0000 2900A91C
	ds_bpermute_b32 v42, v28, v170                             // 000000010FD0: D87E0000 2A00AA1C
	ds_bpermute_b32 v43, v28, v171                             // 000000010FD8: D87E0000 2B00AB1C
	ds_bpermute_b32 v44, v28, v172                             // 000000010FE0: D87E0000 2C00AC1C
	ds_bpermute_b32 v45, v28, v173                             // 000000010FE8: D87E0000 2D00AD1C
	ds_bpermute_b32 v46, v28, v174                             // 000000010FF0: D87E0000 2E00AE1C
	ds_bpermute_b32 v47, v28, v175                             // 000000010FF8: D87E0000 2F00AF1C
	s_waitcnt lgkmcnt(12)                                      // 000000011000: BF8CCC7F
	buffer_store_dwordx4 v[32:35], v7, s[8:11], 0 offen        // 000000011004: E07C1000 80022007
	s_waitcnt lgkmcnt(8)                                       // 00000001100C: BF8CC87F
	buffer_store_dwordx4 v[36:39], v8, s[8:11], 0 offen        // 000000011010: E07C1000 80022408
	s_mov_b32 s56, 64                                          // 000000011018: BEB800C0
	v_add_u32_e32 v7, s56, v7                                  // 00000001101C: 680E0E38
	v_add_u32_e32 v8, s56, v8                                  // 000000011020: 68101038
	s_waitcnt lgkmcnt(4)                                       // 000000011024: BF8CC47F
	buffer_store_dwordx4 v[40:43], v7, s[8:11], 0 offen        // 000000011028: E07C1000 80022807
	s_waitcnt lgkmcnt(0)                                       // 000000011030: BF8CC07F
	buffer_store_dwordx4 v[44:47], v8, s[8:11], 0 offen        // 000000011034: E07C1000 80022C08
	v_add_u32_e32 v7, s56, v7                                  // 00000001103C: 680E0E38
	v_add_u32_e32 v8, s56, v8                                  // 000000011040: 68101038
	v_permlane16_swap_b32_e32 v176, v180                       // 000000011044: 7F60B3B4
	v_permlane16_swap_b32_e32 v177, v181                       // 000000011048: 7F62B3B5
	v_permlane16_swap_b32_e32 v178, v182                       // 00000001104C: 7F64B3B6
	v_permlane16_swap_b32_e32 v179, v183                       // 000000011050: 7F66B3B7
	ds_bpermute_b32 v32, v28, v176                             // 000000011054: D87E0000 2000B01C
	ds_bpermute_b32 v33, v28, v177                             // 00000001105C: D87E0000 2100B11C
	ds_bpermute_b32 v34, v28, v178                             // 000000011064: D87E0000 2200B21C
	ds_bpermute_b32 v35, v28, v179                             // 00000001106C: D87E0000 2300B31C
	ds_bpermute_b32 v36, v28, v180                             // 000000011074: D87E0000 2400B41C
	ds_bpermute_b32 v37, v28, v181                             // 00000001107C: D87E0000 2500B51C
	ds_bpermute_b32 v38, v28, v182                             // 000000011084: D87E0000 2600B61C
	ds_bpermute_b32 v39, v28, v183                             // 00000001108C: D87E0000 2700B71C
	v_permlane16_swap_b32_e32 v184, v188                       // 000000011094: 7F70B3BC
	v_permlane16_swap_b32_e32 v185, v189                       // 000000011098: 7F72B3BD
	v_permlane16_swap_b32_e32 v186, v190                       // 00000001109C: 7F74B3BE
	v_permlane16_swap_b32_e32 v187, v191                       // 0000000110A0: 7F76B3BF
	ds_bpermute_b32 v40, v28, v184                             // 0000000110A4: D87E0000 2800B81C
	ds_bpermute_b32 v41, v28, v185                             // 0000000110AC: D87E0000 2900B91C
	ds_bpermute_b32 v42, v28, v186                             // 0000000110B4: D87E0000 2A00BA1C
	ds_bpermute_b32 v43, v28, v187                             // 0000000110BC: D87E0000 2B00BB1C
	ds_bpermute_b32 v44, v28, v188                             // 0000000110C4: D87E0000 2C00BC1C
	ds_bpermute_b32 v45, v28, v189                             // 0000000110CC: D87E0000 2D00BD1C
	ds_bpermute_b32 v46, v28, v190                             // 0000000110D4: D87E0000 2E00BE1C
	ds_bpermute_b32 v47, v28, v191                             // 0000000110DC: D87E0000 2F00BF1C
	s_waitcnt lgkmcnt(12)                                      // 0000000110E4: BF8CCC7F
	buffer_store_dwordx4 v[32:35], v7, s[8:11], 0 offen        // 0000000110E8: E07C1000 80022007
	s_waitcnt lgkmcnt(8)                                       // 0000000110F0: BF8CC87F
	buffer_store_dwordx4 v[36:39], v8, s[8:11], 0 offen        // 0000000110F4: E07C1000 80022408
	s_mov_b32 s56, 64                                          // 0000000110FC: BEB800C0
	v_add_u32_e32 v7, s56, v7                                  // 000000011100: 680E0E38
	v_add_u32_e32 v8, s56, v8                                  // 000000011104: 68101038
	s_waitcnt lgkmcnt(4)                                       // 000000011108: BF8CC47F
	buffer_store_dwordx4 v[40:43], v7, s[8:11], 0 offen        // 00000001110C: E07C1000 80022807
	s_waitcnt lgkmcnt(0)                                       // 000000011114: BF8CC07F
	buffer_store_dwordx4 v[44:47], v8, s[8:11], 0 offen        // 000000011118: E07C1000 80022C08
	v_add_u32_e32 v7, s56, v7                                  // 000000011120: 680E0E38
	v_add_u32_e32 v8, s56, v8                                  // 000000011124: 68101038
	v_permlane16_swap_b32_e32 v192, v196                       // 000000011128: 7F80B3C4
	v_permlane16_swap_b32_e32 v193, v197                       // 00000001112C: 7F82B3C5
	v_permlane16_swap_b32_e32 v194, v198                       // 000000011130: 7F84B3C6
	v_permlane16_swap_b32_e32 v195, v199                       // 000000011134: 7F86B3C7
	ds_bpermute_b32 v32, v28, v192                             // 000000011138: D87E0000 2000C01C
	ds_bpermute_b32 v33, v28, v193                             // 000000011140: D87E0000 2100C11C
	ds_bpermute_b32 v34, v28, v194                             // 000000011148: D87E0000 2200C21C
	ds_bpermute_b32 v35, v28, v195                             // 000000011150: D87E0000 2300C31C
	ds_bpermute_b32 v36, v28, v196                             // 000000011158: D87E0000 2400C41C
	ds_bpermute_b32 v37, v28, v197                             // 000000011160: D87E0000 2500C51C
	ds_bpermute_b32 v38, v28, v198                             // 000000011168: D87E0000 2600C61C
	ds_bpermute_b32 v39, v28, v199                             // 000000011170: D87E0000 2700C71C
	v_permlane16_swap_b32_e32 v200, v204                       // 000000011178: 7F90B3CC
	v_permlane16_swap_b32_e32 v201, v205                       // 00000001117C: 7F92B3CD
	v_permlane16_swap_b32_e32 v202, v206                       // 000000011180: 7F94B3CE
	v_permlane16_swap_b32_e32 v203, v207                       // 000000011184: 7F96B3CF
	ds_bpermute_b32 v40, v28, v200                             // 000000011188: D87E0000 2800C81C
	ds_bpermute_b32 v41, v28, v201                             // 000000011190: D87E0000 2900C91C
	ds_bpermute_b32 v42, v28, v202                             // 000000011198: D87E0000 2A00CA1C
	ds_bpermute_b32 v43, v28, v203                             // 0000000111A0: D87E0000 2B00CB1C
	ds_bpermute_b32 v44, v28, v204                             // 0000000111A8: D87E0000 2C00CC1C
	ds_bpermute_b32 v45, v28, v205                             // 0000000111B0: D87E0000 2D00CD1C
	ds_bpermute_b32 v46, v28, v206                             // 0000000111B8: D87E0000 2E00CE1C
	ds_bpermute_b32 v47, v28, v207                             // 0000000111C0: D87E0000 2F00CF1C
	s_waitcnt lgkmcnt(12)                                      // 0000000111C8: BF8CCC7F
	buffer_store_dwordx4 v[32:35], v7, s[8:11], 0 offen        // 0000000111CC: E07C1000 80022007
	s_waitcnt lgkmcnt(8)                                       // 0000000111D4: BF8CC87F
	buffer_store_dwordx4 v[36:39], v8, s[8:11], 0 offen        // 0000000111D8: E07C1000 80022408
	s_mov_b32 s56, 64                                          // 0000000111E0: BEB800C0
	v_add_u32_e32 v7, s56, v7                                  // 0000000111E4: 680E0E38
	v_add_u32_e32 v8, s56, v8                                  // 0000000111E8: 68101038
	s_waitcnt lgkmcnt(4)                                       // 0000000111EC: BF8CC47F
	buffer_store_dwordx4 v[40:43], v7, s[8:11], 0 offen        // 0000000111F0: E07C1000 80022807
	s_waitcnt lgkmcnt(0)                                       // 0000000111F8: BF8CC07F
	buffer_store_dwordx4 v[44:47], v8, s[8:11], 0 offen        // 0000000111FC: E07C1000 80022C08
	v_add_u32_e32 v7, s56, v7                                  // 000000011204: 680E0E38
	v_add_u32_e32 v8, s56, v8                                  // 000000011208: 68101038
	v_permlane16_swap_b32_e32 v208, v212                       // 00000001120C: 7FA0B3D4
	.long 0x7fa2b3d5                                           // 000000011210: 7FA2B3D5
	.long 0x7fa4b3d6                                           // 000000011214: 7FA4B3D6
	.long 0x7fa6b3d7                                           // 000000011218: 7FA6B3D7
	ds_bpermute_b32 v32, v28, v208                             // 00000001121C: D87E0000 2000D01C
	ds_bpermute_b32 v33, v28, v209                             // 000000011224: D87E0000 2100D11C
	ds_bpermute_b32 v34, v28, v210                             // 00000001122C: D87E0000 2200D21C
	ds_bpermute_b32 v35, v28, v211                             // 000000011234: D87E0000 2300D31C
	ds_bpermute_b32 v36, v28, v212                             // 00000001123C: D87E0000 2400D41C
	ds_bpermute_b32 v37, v28, v213                             // 000000011244: D87E0000 2500D51C
	ds_bpermute_b32 v38, v28, v214                             // 00000001124C: D87E0000 2600D61C
	ds_bpermute_b32 v39, v28, v215                             // 000000011254: D87E0000 2700D71C
	.long 0x7fb0b3dc                                           // 00000001125C: 7FB0B3DC
	.long 0x7fb2b3dd                                           // 000000011260: 7FB2B3DD
	.long 0x7fb4b3de                                           // 000000011264: 7FB4B3DE
	.long 0x7fb6b3df                                           // 000000011268: 7FB6B3DF
	ds_bpermute_b32 v40, v28, v216                             // 00000001126C: D87E0000 2800D81C
	ds_bpermute_b32 v41, v28, v217                             // 000000011274: D87E0000 2900D91C
	ds_bpermute_b32 v42, v28, v218                             // 00000001127C: D87E0000 2A00DA1C
	ds_bpermute_b32 v43, v28, v219                             // 000000011284: D87E0000 2B00DB1C
	ds_bpermute_b32 v44, v28, v220                             // 00000001128C: D87E0000 2C00DC1C
	ds_bpermute_b32 v45, v28, v221                             // 000000011294: D87E0000 2D00DD1C
	ds_bpermute_b32 v46, v28, v222                             // 00000001129C: D87E0000 2E00DE1C
	ds_bpermute_b32 v47, v28, v223                             // 0000000112A4: D87E0000 2F00DF1C
	s_waitcnt lgkmcnt(12)                                      // 0000000112AC: BF8CCC7F
	buffer_store_dwordx4 v[32:35], v7, s[8:11], 0 offen        // 0000000112B0: E07C1000 80022007
	s_waitcnt lgkmcnt(8)                                       // 0000000112B8: BF8CC87F
	buffer_store_dwordx4 v[36:39], v8, s[8:11], 0 offen        // 0000000112BC: E07C1000 80022408
	s_mov_b32 s56, 64                                          // 0000000112C4: BEB800C0
	v_add_u32_e32 v7, s56, v7                                  // 0000000112C8: 680E0E38
	v_add_u32_e32 v8, s56, v8                                  // 0000000112CC: 68101038
	s_waitcnt lgkmcnt(4)                                       // 0000000112D0: BF8CC47F
	buffer_store_dwordx4 v[40:43], v7, s[8:11], 0 offen        // 0000000112D4: E07C1000 80022807
	s_waitcnt lgkmcnt(0)                                       // 0000000112DC: BF8CC07F
	buffer_store_dwordx4 v[44:47], v8, s[8:11], 0 offen        // 0000000112E0: E07C1000 80022C08
	v_add_u32_e32 v7, s56, v7                                  // 0000000112E8: 680E0E38
	v_add_u32_e32 v8, s56, v8                                  // 0000000112EC: 68101038
	v_and_b32_e32 v28, 1, v0                                   // 0000000112F0: 26380081
	v_lshlrev_b32_e32 v28, 5, v28                              // 0000000112F4: 24383885
	v_and_b32_e32 v29, 3, v0                                   // 0000000112F8: 263A0083
	v_lshrrev_b32_e32 v29, 1, v29                              // 0000000112FC: 203A3A81
	v_lshlrev_b32_e32 v29, 4, v29                              // 000000011300: 243A3A84
	v_add_u32_e32 v28, v28, v29                                // 000000011304: 68383B1C
	v_lshrrev_b32_e32 v29, 2, v0                               // 000000011308: 203A0082
	v_add_u32_e32 v28, v28, v29                                // 00000001130C: 68383B1C
	v_lshlrev_b32_e32 v28, 2, v28                              // 000000011310: 24383882
	v_lshlrev_b32_e32 v30, 4, v0                               // 000000011314: 243C0084
	v_accvgpr_read_b32 v64, a144                               // 000000011318: D3D84040 18000190
	v_accvgpr_read_b32 v65, a145                               // 000000011320: D3D84041 18000191
	v_accvgpr_read_b32 v66, a146                               // 000000011328: D3D84042 18000192
	v_accvgpr_read_b32 v67, a147                               // 000000011330: D3D84043 18000193
	v_accvgpr_read_b32 v68, a148                               // 000000011338: D3D84044 18000194
	v_accvgpr_read_b32 v69, a149                               // 000000011340: D3D84045 18000195
	v_accvgpr_read_b32 v70, a150                               // 000000011348: D3D84046 18000196
	v_accvgpr_read_b32 v71, a151                               // 000000011350: D3D84047 18000197
	v_accvgpr_read_b32 v72, a152                               // 000000011358: D3D84048 18000198
	v_accvgpr_read_b32 v73, a153                               // 000000011360: D3D84049 18000199
	v_accvgpr_read_b32 v74, a154                               // 000000011368: D3D8404A 1800019A
	v_accvgpr_read_b32 v75, a155                               // 000000011370: D3D8404B 1800019B
	v_accvgpr_read_b32 v76, a156                               // 000000011378: D3D8404C 1800019C
	v_accvgpr_read_b32 v77, a157                               // 000000011380: D3D8404D 1800019D
	v_accvgpr_read_b32 v78, a158                               // 000000011388: D3D8404E 1800019E
	v_accvgpr_read_b32 v79, a159                               // 000000011390: D3D8404F 1800019F
	v_permlane16_swap_b32_e32 v64, v68                         // 000000011398: 7E80B344
	v_permlane16_swap_b32_e32 v65, v69                         // 00000001139C: 7E82B345
	v_permlane16_swap_b32_e32 v66, v70                         // 0000000113A0: 7E84B346
	v_permlane16_swap_b32_e32 v67, v71                         // 0000000113A4: 7E86B347
	ds_bpermute_b32 v32, v28, v64                              // 0000000113A8: D87E0000 2000401C
	ds_bpermute_b32 v33, v28, v65                              // 0000000113B0: D87E0000 2100411C
	ds_bpermute_b32 v34, v28, v66                              // 0000000113B8: D87E0000 2200421C
	ds_bpermute_b32 v35, v28, v67                              // 0000000113C0: D87E0000 2300431C
	ds_bpermute_b32 v36, v28, v68                              // 0000000113C8: D87E0000 2400441C
	ds_bpermute_b32 v37, v28, v69                              // 0000000113D0: D87E0000 2500451C
	ds_bpermute_b32 v38, v28, v70                              // 0000000113D8: D87E0000 2600461C
	ds_bpermute_b32 v39, v28, v71                              // 0000000113E0: D87E0000 2700471C
	v_permlane16_swap_b32_e32 v72, v76                         // 0000000113E8: 7E90B34C
	v_permlane16_swap_b32_e32 v73, v77                         // 0000000113EC: 7E92B34D
	v_permlane16_swap_b32_e32 v74, v78                         // 0000000113F0: 7E94B34E
	v_permlane16_swap_b32_e32 v75, v79                         // 0000000113F4: 7E96B34F
	ds_bpermute_b32 v40, v28, v72                              // 0000000113F8: D87E0000 2800481C
	ds_bpermute_b32 v41, v28, v73                              // 000000011400: D87E0000 2900491C
	ds_bpermute_b32 v42, v28, v74                              // 000000011408: D87E0000 2A004A1C
	ds_bpermute_b32 v43, v28, v75                              // 000000011410: D87E0000 2B004B1C
	ds_bpermute_b32 v44, v28, v76                              // 000000011418: D87E0000 2C004C1C
	ds_bpermute_b32 v45, v28, v77                              // 000000011420: D87E0000 2D004D1C
	ds_bpermute_b32 v46, v28, v78                              // 000000011428: D87E0000 2E004E1C
	ds_bpermute_b32 v47, v28, v79                              // 000000011430: D87E0000 2F004F1C
	s_waitcnt lgkmcnt(12)                                      // 000000011438: BF8CCC7F
	buffer_store_dwordx4 v[32:35], v7, s[8:11], 0 offen        // 00000001143C: E07C1000 80022007
	s_waitcnt lgkmcnt(8)                                       // 000000011444: BF8CC87F
	buffer_store_dwordx4 v[36:39], v8, s[8:11], 0 offen        // 000000011448: E07C1000 80022408
	s_mov_b32 s56, 64                                          // 000000011450: BEB800C0
	v_add_u32_e32 v7, s56, v7                                  // 000000011454: 680E0E38
	v_add_u32_e32 v8, s56, v8                                  // 000000011458: 68101038
	s_waitcnt lgkmcnt(4)                                       // 00000001145C: BF8CC47F
	buffer_store_dwordx4 v[40:43], v7, s[8:11], 0 offen        // 000000011460: E07C1000 80022807
	s_waitcnt lgkmcnt(0)                                       // 000000011468: BF8CC07F
	buffer_store_dwordx4 v[44:47], v8, s[8:11], 0 offen        // 00000001146C: E07C1000 80022C08
	v_add_u32_e32 v7, s56, v7                                  // 000000011474: 680E0E38
	v_add_u32_e32 v8, s56, v8                                  // 000000011478: 68101038
	v_accvgpr_read_b32 v64, a160                               // 00000001147C: D3D84040 180001A0
	v_accvgpr_read_b32 v65, a161                               // 000000011484: D3D84041 180001A1
	v_accvgpr_read_b32 v66, a162                               // 00000001148C: D3D84042 180001A2
	v_accvgpr_read_b32 v67, a163                               // 000000011494: D3D84043 180001A3
	v_accvgpr_read_b32 v68, a164                               // 00000001149C: D3D84044 180001A4
	v_accvgpr_read_b32 v69, a165                               // 0000000114A4: D3D84045 180001A5
	v_accvgpr_read_b32 v70, a166                               // 0000000114AC: D3D84046 180001A6
	v_accvgpr_read_b32 v71, a167                               // 0000000114B4: D3D84047 180001A7
	v_accvgpr_read_b32 v72, a168                               // 0000000114BC: D3D84048 180001A8
	v_accvgpr_read_b32 v73, a169                               // 0000000114C4: D3D84049 180001A9
	v_accvgpr_read_b32 v74, a170                               // 0000000114CC: D3D8404A 180001AA
	v_accvgpr_read_b32 v75, a171                               // 0000000114D4: D3D8404B 180001AB
	v_accvgpr_read_b32 v76, a172                               // 0000000114DC: D3D8404C 180001AC
	v_accvgpr_read_b32 v77, a173                               // 0000000114E4: D3D8404D 180001AD
	v_accvgpr_read_b32 v78, a174                               // 0000000114EC: D3D8404E 180001AE
	v_accvgpr_read_b32 v79, a175                               // 0000000114F4: D3D8404F 180001AF
	v_permlane16_swap_b32_e32 v64, v68                         // 0000000114FC: 7E80B344
	v_permlane16_swap_b32_e32 v65, v69                         // 000000011500: 7E82B345
	v_permlane16_swap_b32_e32 v66, v70                         // 000000011504: 7E84B346
	v_permlane16_swap_b32_e32 v67, v71                         // 000000011508: 7E86B347
	ds_bpermute_b32 v32, v28, v64                              // 00000001150C: D87E0000 2000401C
	ds_bpermute_b32 v33, v28, v65                              // 000000011514: D87E0000 2100411C
	ds_bpermute_b32 v34, v28, v66                              // 00000001151C: D87E0000 2200421C
	ds_bpermute_b32 v35, v28, v67                              // 000000011524: D87E0000 2300431C
	ds_bpermute_b32 v36, v28, v68                              // 00000001152C: D87E0000 2400441C
	ds_bpermute_b32 v37, v28, v69                              // 000000011534: D87E0000 2500451C
	ds_bpermute_b32 v38, v28, v70                              // 00000001153C: D87E0000 2600461C
	ds_bpermute_b32 v39, v28, v71                              // 000000011544: D87E0000 2700471C
	v_permlane16_swap_b32_e32 v72, v76                         // 00000001154C: 7E90B34C
	v_permlane16_swap_b32_e32 v73, v77                         // 000000011550: 7E92B34D
	v_permlane16_swap_b32_e32 v74, v78                         // 000000011554: 7E94B34E
	v_permlane16_swap_b32_e32 v75, v79                         // 000000011558: 7E96B34F
	ds_bpermute_b32 v40, v28, v72                              // 00000001155C: D87E0000 2800481C
	ds_bpermute_b32 v41, v28, v73                              // 000000011564: D87E0000 2900491C
	ds_bpermute_b32 v42, v28, v74                              // 00000001156C: D87E0000 2A004A1C
	ds_bpermute_b32 v43, v28, v75                              // 000000011574: D87E0000 2B004B1C
	ds_bpermute_b32 v44, v28, v76                              // 00000001157C: D87E0000 2C004C1C
	ds_bpermute_b32 v45, v28, v77                              // 000000011584: D87E0000 2D004D1C
	ds_bpermute_b32 v46, v28, v78                              // 00000001158C: D87E0000 2E004E1C
	ds_bpermute_b32 v47, v28, v79                              // 000000011594: D87E0000 2F004F1C
	s_waitcnt lgkmcnt(12)                                      // 00000001159C: BF8CCC7F
	buffer_store_dwordx4 v[32:35], v7, s[8:11], 0 offen        // 0000000115A0: E07C1000 80022007
	s_waitcnt lgkmcnt(8)                                       // 0000000115A8: BF8CC87F
	buffer_store_dwordx4 v[36:39], v8, s[8:11], 0 offen        // 0000000115AC: E07C1000 80022408
	s_mov_b32 s56, 64                                          // 0000000115B4: BEB800C0
	v_add_u32_e32 v7, s56, v7                                  // 0000000115B8: 680E0E38
	v_add_u32_e32 v8, s56, v8                                  // 0000000115BC: 68101038
	s_waitcnt lgkmcnt(4)                                       // 0000000115C0: BF8CC47F
	buffer_store_dwordx4 v[40:43], v7, s[8:11], 0 offen        // 0000000115C4: E07C1000 80022807
	s_waitcnt lgkmcnt(0)                                       // 0000000115CC: BF8CC07F
	buffer_store_dwordx4 v[44:47], v8, s[8:11], 0 offen        // 0000000115D0: E07C1000 80022C08
	v_add_u32_e32 v7, s56, v7                                  // 0000000115D8: 680E0E38
	v_add_u32_e32 v8, s56, v8                                  // 0000000115DC: 68101038
	v_accvgpr_read_b32 v64, a176                               // 0000000115E0: D3D84040 180001B0
	v_accvgpr_read_b32 v65, a177                               // 0000000115E8: D3D84041 180001B1
	v_accvgpr_read_b32 v66, a178                               // 0000000115F0: D3D84042 180001B2
	v_accvgpr_read_b32 v67, a179                               // 0000000115F8: D3D84043 180001B3
	v_accvgpr_read_b32 v68, a180                               // 000000011600: D3D84044 180001B4
	v_accvgpr_read_b32 v69, a181                               // 000000011608: D3D84045 180001B5
	v_accvgpr_read_b32 v70, a182                               // 000000011610: D3D84046 180001B6
	v_accvgpr_read_b32 v71, a183                               // 000000011618: D3D84047 180001B7
	v_accvgpr_read_b32 v72, a184                               // 000000011620: D3D84048 180001B8
	v_accvgpr_read_b32 v73, a185                               // 000000011628: D3D84049 180001B9
	v_accvgpr_read_b32 v74, a186                               // 000000011630: D3D8404A 180001BA
	v_accvgpr_read_b32 v75, a187                               // 000000011638: D3D8404B 180001BB
	v_accvgpr_read_b32 v76, a188                               // 000000011640: D3D8404C 180001BC
	v_accvgpr_read_b32 v77, a189                               // 000000011648: D3D8404D 180001BD
	v_accvgpr_read_b32 v78, a190                               // 000000011650: D3D8404E 180001BE
	v_accvgpr_read_b32 v79, a191                               // 000000011658: D3D8404F 180001BF
	v_permlane16_swap_b32_e32 v64, v68                         // 000000011660: 7E80B344
	v_permlane16_swap_b32_e32 v65, v69                         // 000000011664: 7E82B345
	v_permlane16_swap_b32_e32 v66, v70                         // 000000011668: 7E84B346
	v_permlane16_swap_b32_e32 v67, v71                         // 00000001166C: 7E86B347
	ds_bpermute_b32 v32, v28, v64                              // 000000011670: D87E0000 2000401C
	ds_bpermute_b32 v33, v28, v65                              // 000000011678: D87E0000 2100411C
	ds_bpermute_b32 v34, v28, v66                              // 000000011680: D87E0000 2200421C
	ds_bpermute_b32 v35, v28, v67                              // 000000011688: D87E0000 2300431C
	ds_bpermute_b32 v36, v28, v68                              // 000000011690: D87E0000 2400441C
	ds_bpermute_b32 v37, v28, v69                              // 000000011698: D87E0000 2500451C
	ds_bpermute_b32 v38, v28, v70                              // 0000000116A0: D87E0000 2600461C
	ds_bpermute_b32 v39, v28, v71                              // 0000000116A8: D87E0000 2700471C
	v_permlane16_swap_b32_e32 v72, v76                         // 0000000116B0: 7E90B34C
	v_permlane16_swap_b32_e32 v73, v77                         // 0000000116B4: 7E92B34D
	v_permlane16_swap_b32_e32 v74, v78                         // 0000000116B8: 7E94B34E
	v_permlane16_swap_b32_e32 v75, v79                         // 0000000116BC: 7E96B34F
	ds_bpermute_b32 v40, v28, v72                              // 0000000116C0: D87E0000 2800481C
	ds_bpermute_b32 v41, v28, v73                              // 0000000116C8: D87E0000 2900491C
	ds_bpermute_b32 v42, v28, v74                              // 0000000116D0: D87E0000 2A004A1C
	ds_bpermute_b32 v43, v28, v75                              // 0000000116D8: D87E0000 2B004B1C
	ds_bpermute_b32 v44, v28, v76                              // 0000000116E0: D87E0000 2C004C1C
	ds_bpermute_b32 v45, v28, v77                              // 0000000116E8: D87E0000 2D004D1C
	ds_bpermute_b32 v46, v28, v78                              // 0000000116F0: D87E0000 2E004E1C
	ds_bpermute_b32 v47, v28, v79                              // 0000000116F8: D87E0000 2F004F1C
	s_waitcnt lgkmcnt(12)                                      // 000000011700: BF8CCC7F
	buffer_store_dwordx4 v[32:35], v7, s[8:11], 0 offen        // 000000011704: E07C1000 80022007
	s_waitcnt lgkmcnt(8)                                       // 00000001170C: BF8CC87F
	buffer_store_dwordx4 v[36:39], v8, s[8:11], 0 offen        // 000000011710: E07C1000 80022408
	s_mov_b32 s56, 64                                          // 000000011718: BEB800C0
	v_add_u32_e32 v7, s56, v7                                  // 00000001171C: 680E0E38
	v_add_u32_e32 v8, s56, v8                                  // 000000011720: 68101038
	s_waitcnt lgkmcnt(4)                                       // 000000011724: BF8CC47F
	buffer_store_dwordx4 v[40:43], v7, s[8:11], 0 offen        // 000000011728: E07C1000 80022807
	s_waitcnt lgkmcnt(0)                                       // 000000011730: BF8CC07F
	buffer_store_dwordx4 v[44:47], v8, s[8:11], 0 offen        // 000000011734: E07C1000 80022C08
	v_add_u32_e32 v7, s56, v7                                  // 00000001173C: 680E0E38
	v_add_u32_e32 v8, s56, v8                                  // 000000011740: 68101038
	v_accvgpr_read_b32 v64, a192                               // 000000011744: D3D84040 180001C0
	v_accvgpr_read_b32 v65, a193                               // 00000001174C: D3D84041 180001C1
	v_accvgpr_read_b32 v66, a194                               // 000000011754: D3D84042 180001C2
	v_accvgpr_read_b32 v67, a195                               // 00000001175C: D3D84043 180001C3
	v_accvgpr_read_b32 v68, a196                               // 000000011764: D3D84044 180001C4
	v_accvgpr_read_b32 v69, a197                               // 00000001176C: D3D84045 180001C5
	v_accvgpr_read_b32 v70, a198                               // 000000011774: D3D84046 180001C6
	v_accvgpr_read_b32 v71, a199                               // 00000001177C: D3D84047 180001C7
	v_accvgpr_read_b32 v72, a200                               // 000000011784: D3D84048 180001C8
	v_accvgpr_read_b32 v73, a201                               // 00000001178C: D3D84049 180001C9
	v_accvgpr_read_b32 v74, a202                               // 000000011794: D3D8404A 180001CA
	v_accvgpr_read_b32 v75, a203                               // 00000001179C: D3D8404B 180001CB
	v_accvgpr_read_b32 v76, a204                               // 0000000117A4: D3D8404C 180001CC
	v_accvgpr_read_b32 v77, a205                               // 0000000117AC: D3D8404D 180001CD
	v_accvgpr_read_b32 v78, a206                               // 0000000117B4: D3D8404E 180001CE
	v_accvgpr_read_b32 v79, a207                               // 0000000117BC: D3D8404F 180001CF
	v_permlane16_swap_b32_e32 v64, v68                         // 0000000117C4: 7E80B344
	v_permlane16_swap_b32_e32 v65, v69                         // 0000000117C8: 7E82B345
	v_permlane16_swap_b32_e32 v66, v70                         // 0000000117CC: 7E84B346
	v_permlane16_swap_b32_e32 v67, v71                         // 0000000117D0: 7E86B347
	ds_bpermute_b32 v32, v28, v64                              // 0000000117D4: D87E0000 2000401C
	ds_bpermute_b32 v33, v28, v65                              // 0000000117DC: D87E0000 2100411C
	ds_bpermute_b32 v34, v28, v66                              // 0000000117E4: D87E0000 2200421C
	ds_bpermute_b32 v35, v28, v67                              // 0000000117EC: D87E0000 2300431C
	ds_bpermute_b32 v36, v28, v68                              // 0000000117F4: D87E0000 2400441C
	ds_bpermute_b32 v37, v28, v69                              // 0000000117FC: D87E0000 2500451C
	ds_bpermute_b32 v38, v28, v70                              // 000000011804: D87E0000 2600461C
	ds_bpermute_b32 v39, v28, v71                              // 00000001180C: D87E0000 2700471C
	v_permlane16_swap_b32_e32 v72, v76                         // 000000011814: 7E90B34C
	v_permlane16_swap_b32_e32 v73, v77                         // 000000011818: 7E92B34D
	v_permlane16_swap_b32_e32 v74, v78                         // 00000001181C: 7E94B34E
	v_permlane16_swap_b32_e32 v75, v79                         // 000000011820: 7E96B34F
	ds_bpermute_b32 v40, v28, v72                              // 000000011824: D87E0000 2800481C
	ds_bpermute_b32 v41, v28, v73                              // 00000001182C: D87E0000 2900491C
	ds_bpermute_b32 v42, v28, v74                              // 000000011834: D87E0000 2A004A1C
	ds_bpermute_b32 v43, v28, v75                              // 00000001183C: D87E0000 2B004B1C
	ds_bpermute_b32 v44, v28, v76                              // 000000011844: D87E0000 2C004C1C
	ds_bpermute_b32 v45, v28, v77                              // 00000001184C: D87E0000 2D004D1C
	ds_bpermute_b32 v46, v28, v78                              // 000000011854: D87E0000 2E004E1C
	ds_bpermute_b32 v47, v28, v79                              // 00000001185C: D87E0000 2F004F1C
	s_waitcnt lgkmcnt(12)                                      // 000000011864: BF8CCC7F
	buffer_store_dwordx4 v[32:35], v7, s[8:11], 0 offen        // 000000011868: E07C1000 80022007
	s_waitcnt lgkmcnt(8)                                       // 000000011870: BF8CC87F
	buffer_store_dwordx4 v[36:39], v8, s[8:11], 0 offen        // 000000011874: E07C1000 80022408
	s_mov_b32 s56, 64                                          // 00000001187C: BEB800C0
	v_add_u32_e32 v7, s56, v7                                  // 000000011880: 680E0E38
	v_add_u32_e32 v8, s56, v8                                  // 000000011884: 68101038
	s_waitcnt lgkmcnt(4)                                       // 000000011888: BF8CC47F
	buffer_store_dwordx4 v[40:43], v7, s[8:11], 0 offen        // 00000001188C: E07C1000 80022807
	s_waitcnt lgkmcnt(0)                                       // 000000011894: BF8CC07F
	buffer_store_dwordx4 v[44:47], v8, s[8:11], 0 offen        // 000000011898: E07C1000 80022C08
	v_add_u32_e32 v7, s56, v7                                  // 0000000118A0: 680E0E38
	v_add_u32_e32 v8, s56, v8                                  // 0000000118A4: 68101038
	v_accvgpr_read_b32 v64, a208                               // 0000000118A8: D3D84040 180001D0
	v_accvgpr_read_b32 v65, a209                               // 0000000118B0: D3D84041 180001D1
	v_accvgpr_read_b32 v66, a210                               // 0000000118B8: D3D84042 180001D2
	v_accvgpr_read_b32 v67, a211                               // 0000000118C0: D3D84043 180001D3
	v_accvgpr_read_b32 v68, a212                               // 0000000118C8: D3D84044 180001D4
	v_accvgpr_read_b32 v69, a213                               // 0000000118D0: D3D84045 180001D5
	v_accvgpr_read_b32 v70, a214                               // 0000000118D8: D3D84046 180001D6
	v_accvgpr_read_b32 v71, a215                               // 0000000118E0: D3D84047 180001D7
	v_accvgpr_read_b32 v72, a216                               // 0000000118E8: D3D84048 180001D8
	v_accvgpr_read_b32 v73, a217                               // 0000000118F0: D3D84049 180001D9
	v_accvgpr_read_b32 v74, a218                               // 0000000118F8: D3D8404A 180001DA
	v_accvgpr_read_b32 v75, a219                               // 000000011900: D3D8404B 180001DB
	v_accvgpr_read_b32 v76, a220                               // 000000011908: D3D8404C 180001DC
	v_accvgpr_read_b32 v77, a221                               // 000000011910: D3D8404D 180001DD
	v_accvgpr_read_b32 v78, a222                               // 000000011918: D3D8404E 180001DE
	v_accvgpr_read_b32 v79, a223                               // 000000011920: D3D8404F 180001DF
	v_permlane16_swap_b32_e32 v64, v68                         // 000000011928: 7E80B344
	v_permlane16_swap_b32_e32 v65, v69                         // 00000001192C: 7E82B345
	v_permlane16_swap_b32_e32 v66, v70                         // 000000011930: 7E84B346
	v_permlane16_swap_b32_e32 v67, v71                         // 000000011934: 7E86B347
	ds_bpermute_b32 v32, v28, v64                              // 000000011938: D87E0000 2000401C
	ds_bpermute_b32 v33, v28, v65                              // 000000011940: D87E0000 2100411C
	ds_bpermute_b32 v34, v28, v66                              // 000000011948: D87E0000 2200421C
	ds_bpermute_b32 v35, v28, v67                              // 000000011950: D87E0000 2300431C
	ds_bpermute_b32 v36, v28, v68                              // 000000011958: D87E0000 2400441C
	ds_bpermute_b32 v37, v28, v69                              // 000000011960: D87E0000 2500451C
	ds_bpermute_b32 v38, v28, v70                              // 000000011968: D87E0000 2600461C
	ds_bpermute_b32 v39, v28, v71                              // 000000011970: D87E0000 2700471C
	v_permlane16_swap_b32_e32 v72, v76                         // 000000011978: 7E90B34C
	v_permlane16_swap_b32_e32 v73, v77                         // 00000001197C: 7E92B34D
	v_permlane16_swap_b32_e32 v74, v78                         // 000000011980: 7E94B34E
	v_permlane16_swap_b32_e32 v75, v79                         // 000000011984: 7E96B34F
	ds_bpermute_b32 v40, v28, v72                              // 000000011988: D87E0000 2800481C
	ds_bpermute_b32 v41, v28, v73                              // 000000011990: D87E0000 2900491C
	ds_bpermute_b32 v42, v28, v74                              // 000000011998: D87E0000 2A004A1C
	ds_bpermute_b32 v43, v28, v75                              // 0000000119A0: D87E0000 2B004B1C
	ds_bpermute_b32 v44, v28, v76                              // 0000000119A8: D87E0000 2C004C1C
	ds_bpermute_b32 v45, v28, v77                              // 0000000119B0: D87E0000 2D004D1C
	ds_bpermute_b32 v46, v28, v78                              // 0000000119B8: D87E0000 2E004E1C
	ds_bpermute_b32 v47, v28, v79                              // 0000000119C0: D87E0000 2F004F1C
	s_waitcnt lgkmcnt(12)                                      // 0000000119C8: BF8CCC7F
	buffer_store_dwordx4 v[32:35], v7, s[8:11], 0 offen        // 0000000119CC: E07C1000 80022007
	s_waitcnt lgkmcnt(8)                                       // 0000000119D4: BF8CC87F
	buffer_store_dwordx4 v[36:39], v8, s[8:11], 0 offen        // 0000000119D8: E07C1000 80022408
	s_mov_b32 s56, 64                                          // 0000000119E0: BEB800C0
	v_add_u32_e32 v7, s56, v7                                  // 0000000119E4: 680E0E38
	v_add_u32_e32 v8, s56, v8                                  // 0000000119E8: 68101038
	s_waitcnt lgkmcnt(4)                                       // 0000000119EC: BF8CC47F
	buffer_store_dwordx4 v[40:43], v7, s[8:11], 0 offen        // 0000000119F0: E07C1000 80022807
	s_waitcnt lgkmcnt(0)                                       // 0000000119F8: BF8CC07F
	buffer_store_dwordx4 v[44:47], v8, s[8:11], 0 offen        // 0000000119FC: E07C1000 80022C08
	v_add_u32_e32 v7, s56, v7                                  // 000000011A04: 680E0E38
	v_add_u32_e32 v8, s56, v8                                  // 000000011A08: 68101038
	v_accvgpr_read_b32 v64, a224                               // 000000011A0C: D3D84040 180001E0
	v_accvgpr_read_b32 v65, a225                               // 000000011A14: D3D84041 180001E1
	v_accvgpr_read_b32 v66, a226                               // 000000011A1C: D3D84042 180001E2
	v_accvgpr_read_b32 v67, a227                               // 000000011A24: D3D84043 180001E3
	v_accvgpr_read_b32 v68, a228                               // 000000011A2C: D3D84044 180001E4
	v_accvgpr_read_b32 v69, a229                               // 000000011A34: D3D84045 180001E5
	v_accvgpr_read_b32 v70, a230                               // 000000011A3C: D3D84046 180001E6
	v_accvgpr_read_b32 v71, a231                               // 000000011A44: D3D84047 180001E7
	v_accvgpr_read_b32 v72, a232                               // 000000011A4C: D3D84048 180001E8
	v_accvgpr_read_b32 v73, a233                               // 000000011A54: D3D84049 180001E9
	v_accvgpr_read_b32 v74, a234                               // 000000011A5C: D3D8404A 180001EA
	v_accvgpr_read_b32 v75, a235                               // 000000011A64: D3D8404B 180001EB
	v_accvgpr_read_b32 v76, a236                               // 000000011A6C: D3D8404C 180001EC
	v_accvgpr_read_b32 v77, a237                               // 000000011A74: D3D8404D 180001ED
	v_accvgpr_read_b32 v78, a238                               // 000000011A7C: D3D8404E 180001EE
	v_accvgpr_read_b32 v79, a239                               // 000000011A84: D3D8404F 180001EF
	v_permlane16_swap_b32_e32 v64, v68                         // 000000011A8C: 7E80B344
	v_permlane16_swap_b32_e32 v65, v69                         // 000000011A90: 7E82B345
	v_permlane16_swap_b32_e32 v66, v70                         // 000000011A94: 7E84B346
	v_permlane16_swap_b32_e32 v67, v71                         // 000000011A98: 7E86B347
	ds_bpermute_b32 v32, v28, v64                              // 000000011A9C: D87E0000 2000401C
	ds_bpermute_b32 v33, v28, v65                              // 000000011AA4: D87E0000 2100411C
	ds_bpermute_b32 v34, v28, v66                              // 000000011AAC: D87E0000 2200421C
	ds_bpermute_b32 v35, v28, v67                              // 000000011AB4: D87E0000 2300431C
	ds_bpermute_b32 v36, v28, v68                              // 000000011ABC: D87E0000 2400441C
	ds_bpermute_b32 v37, v28, v69                              // 000000011AC4: D87E0000 2500451C
	ds_bpermute_b32 v38, v28, v70                              // 000000011ACC: D87E0000 2600461C
	ds_bpermute_b32 v39, v28, v71                              // 000000011AD4: D87E0000 2700471C
	v_permlane16_swap_b32_e32 v72, v76                         // 000000011ADC: 7E90B34C
	v_permlane16_swap_b32_e32 v73, v77                         // 000000011AE0: 7E92B34D
	v_permlane16_swap_b32_e32 v74, v78                         // 000000011AE4: 7E94B34E
	v_permlane16_swap_b32_e32 v75, v79                         // 000000011AE8: 7E96B34F
	ds_bpermute_b32 v40, v28, v72                              // 000000011AEC: D87E0000 2800481C
	ds_bpermute_b32 v41, v28, v73                              // 000000011AF4: D87E0000 2900491C
	ds_bpermute_b32 v42, v28, v74                              // 000000011AFC: D87E0000 2A004A1C
	ds_bpermute_b32 v43, v28, v75                              // 000000011B04: D87E0000 2B004B1C
	ds_bpermute_b32 v44, v28, v76                              // 000000011B0C: D87E0000 2C004C1C
	ds_bpermute_b32 v45, v28, v77                              // 000000011B14: D87E0000 2D004D1C
	ds_bpermute_b32 v46, v28, v78                              // 000000011B1C: D87E0000 2E004E1C
	ds_bpermute_b32 v47, v28, v79                              // 000000011B24: D87E0000 2F004F1C
	s_waitcnt lgkmcnt(12)                                      // 000000011B2C: BF8CCC7F
	buffer_store_dwordx4 v[32:35], v7, s[8:11], 0 offen        // 000000011B30: E07C1000 80022007
	s_waitcnt lgkmcnt(8)                                       // 000000011B38: BF8CC87F
	buffer_store_dwordx4 v[36:39], v8, s[8:11], 0 offen        // 000000011B3C: E07C1000 80022408
	s_mov_b32 s56, 64                                          // 000000011B44: BEB800C0
	v_add_u32_e32 v7, s56, v7                                  // 000000011B48: 680E0E38
	v_add_u32_e32 v8, s56, v8                                  // 000000011B4C: 68101038
	s_waitcnt lgkmcnt(4)                                       // 000000011B50: BF8CC47F
	buffer_store_dwordx4 v[40:43], v7, s[8:11], 0 offen        // 000000011B54: E07C1000 80022807
	s_waitcnt lgkmcnt(0)                                       // 000000011B5C: BF8CC07F
	buffer_store_dwordx4 v[44:47], v8, s[8:11], 0 offen        // 000000011B60: E07C1000 80022C08
	v_add_u32_e32 v7, s56, v7                                  // 000000011B68: 680E0E38
	v_add_u32_e32 v8, s56, v8                                  // 000000011B6C: 68101038
	buffer_store_dword v5, v9, s[12:15], 0 offen               // 000000011B70: E0701000 80030509
	s_branch label_10AA4                                       // 000000011B78: BF820408

0000000000011b7c <label_FA84>:
	s_mul_i32 s75, 0x400, s90                                  // 000000011B7C: 924B5AFF 00000400
	s_mul_i32 s56, s78, s75                                    // 000000011B84: 92384B4E
	s_add_u32 s88, s56, s88                                    // 000000011B88: 80585838
	s_addc_u32 s89, 0, s89                                     // 000000011B8C: 82595980
	s_mul_i32 s56, s75, s81                                    // 000000011B90: 9238514B
	s_mov_b32 s90, s56                                         // 000000011B94: BEDA0038
	s_mul_i32 s56, s7, 0x8000                                  // 000000011B98: 9238FF07 00008000
	v_lshrrev_b32_e32 v7, 2, v0                                // 000000011BA0: 200E0082
	s_mov_b32 s57, 0x400                                       // 000000011BA4: BEB900FF 00000400
	v_mul_i32_i24_e32 v7, s57, v7                              // 000000011BAC: 0C0E0E39
	v_and_b32_e32 v28, 3, v0                                   // 000000011BB0: 26380083
	v_lshlrev_b32_e32 v28, 4, v28                              // 000000011BB4: 24383884
	v_add_u32_e32 v7, v28, v7                                  // 000000011BB8: 680E0F1C
	v_add_u32_e32 v7, s56, v7                                  // 000000011BBC: 680E0E38
	s_mov_b32 s57, 0x4000                                      // 000000011BC0: BEB900FF 00004000
	v_add_u32_e32 v8, s57, v7                                  // 000000011BC8: 68100E39
	v_and_b32_e32 v28, 1, v0                                   // 000000011BCC: 26380081
	v_lshlrev_b32_e32 v28, 5, v28                              // 000000011BD0: 24383885
	v_and_b32_e32 v29, 3, v0                                   // 000000011BD4: 263A0083
	v_lshrrev_b32_e32 v29, 1, v29                              // 000000011BD8: 203A3A81
	v_lshlrev_b32_e32 v29, 4, v29                              // 000000011BDC: 243A3A84
	v_add_u32_e32 v28, v28, v29                                // 000000011BE0: 68383B1C
	v_lshrrev_b32_e32 v29, 2, v0                               // 000000011BE4: 203A0082
	v_add_u32_e32 v28, v28, v29                                // 000000011BE8: 68383B1C
	v_lshlrev_b32_e32 v28, 2, v28                              // 000000011BEC: 24383882
	v_lshlrev_b32_e32 v30, 4, v0                               // 000000011BF0: 243C0084
	v_cvt_pk_bf16_f32 v64, v64, v65                            // 000000011BF4: D2680040 00028340
	v_cvt_pk_bf16_f32 v65, v66, v67                            // 000000011BFC: D2680041 00028742
	v_cvt_pk_bf16_f32 v66, v68, v69                            // 000000011C04: D2680042 00028B44
	v_cvt_pk_bf16_f32 v67, v70, v71                            // 000000011C0C: D2680043 00028F46
	v_cvt_pk_bf16_f32 v68, v72, v73                            // 000000011C14: D2680044 00029348
	v_cvt_pk_bf16_f32 v69, v74, v75                            // 000000011C1C: D2680045 0002974A
	v_cvt_pk_bf16_f32 v70, v76, v77                            // 000000011C24: D2680046 00029B4C
	v_cvt_pk_bf16_f32 v71, v78, v79                            // 000000011C2C: D2680047 00029F4E
	v_permlane32_swap_b32_e32 v64, v66                         // 000000011C34: 7E80B542
	v_permlane32_swap_b32_e32 v65, v67                         // 000000011C38: 7E82B543
	v_permlane32_swap_b32_e32 v68, v70                         // 000000011C3C: 7E88B546
	v_permlane32_swap_b32_e32 v69, v71                         // 000000011C40: 7E8AB547
	s_nop 1                                                    // 000000011C44: BF800001
	v_permlane16_swap_b32_e32 v64, v68                         // 000000011C48: 7E80B344
	v_permlane16_swap_b32_e32 v65, v69                         // 000000011C4C: 7E82B345
	v_permlane16_swap_b32_e32 v66, v70                         // 000000011C50: 7E84B346
	v_permlane16_swap_b32_e32 v67, v71                         // 000000011C54: 7E86B347
	ds_bpermute_b32 v32, v28, v64                              // 000000011C58: D87E0000 2000401C
	ds_bpermute_b32 v33, v28, v65                              // 000000011C60: D87E0000 2100411C
	ds_bpermute_b32 v34, v28, v66                              // 000000011C68: D87E0000 2200421C
	ds_bpermute_b32 v35, v28, v67                              // 000000011C70: D87E0000 2300431C
	ds_bpermute_b32 v36, v28, v68                              // 000000011C78: D87E0000 2400441C
	ds_bpermute_b32 v37, v28, v69                              // 000000011C80: D87E0000 2500451C
	ds_bpermute_b32 v38, v28, v70                              // 000000011C88: D87E0000 2600461C
	ds_bpermute_b32 v39, v28, v71                              // 000000011C90: D87E0000 2700471C
	s_waitcnt lgkmcnt(4)                                       // 000000011C98: BF8CC47F
	buffer_store_dwordx4 v[32:35], v7, s[88:91], 0 offen       // 000000011C9C: E07C1000 80162007
	s_mov_b32 s56, 64                                          // 000000011CA4: BEB800C0
	v_add_u32_e32 v7, s56, v7                                  // 000000011CA8: 680E0E38
	s_waitcnt lgkmcnt(0)                                       // 000000011CAC: BF8CC07F
	buffer_store_dwordx4 v[36:39], v8, s[88:91], 0 offen       // 000000011CB0: E07C1000 80162408
	v_add_u32_e32 v8, s56, v8                                  // 000000011CB8: 68101038
	v_cvt_pk_bf16_f32 v64, v80, v81                            // 000000011CBC: D2680040 0002A350
	v_cvt_pk_bf16_f32 v65, v82, v83                            // 000000011CC4: D2680041 0002A752
	v_cvt_pk_bf16_f32 v66, v84, v85                            // 000000011CCC: D2680042 0002AB54
	v_cvt_pk_bf16_f32 v67, v86, v87                            // 000000011CD4: D2680043 0002AF56
	v_cvt_pk_bf16_f32 v68, v88, v89                            // 000000011CDC: D2680044 0002B358
	v_cvt_pk_bf16_f32 v69, v90, v91                            // 000000011CE4: D2680045 0002B75A
	v_cvt_pk_bf16_f32 v70, v92, v93                            // 000000011CEC: D2680046 0002BB5C
	v_cvt_pk_bf16_f32 v71, v94, v95                            // 000000011CF4: D2680047 0002BF5E
	v_permlane32_swap_b32_e32 v64, v66                         // 000000011CFC: 7E80B542
	v_permlane32_swap_b32_e32 v65, v67                         // 000000011D00: 7E82B543
	v_permlane32_swap_b32_e32 v68, v70                         // 000000011D04: 7E88B546
	v_permlane32_swap_b32_e32 v69, v71                         // 000000011D08: 7E8AB547
	s_nop 1                                                    // 000000011D0C: BF800001
	v_permlane16_swap_b32_e32 v64, v68                         // 000000011D10: 7E80B344
	v_permlane16_swap_b32_e32 v65, v69                         // 000000011D14: 7E82B345
	v_permlane16_swap_b32_e32 v66, v70                         // 000000011D18: 7E84B346
	v_permlane16_swap_b32_e32 v67, v71                         // 000000011D1C: 7E86B347
	ds_bpermute_b32 v32, v28, v64                              // 000000011D20: D87E0000 2000401C
	ds_bpermute_b32 v33, v28, v65                              // 000000011D28: D87E0000 2100411C
	ds_bpermute_b32 v34, v28, v66                              // 000000011D30: D87E0000 2200421C
	ds_bpermute_b32 v35, v28, v67                              // 000000011D38: D87E0000 2300431C
	ds_bpermute_b32 v36, v28, v68                              // 000000011D40: D87E0000 2400441C
	ds_bpermute_b32 v37, v28, v69                              // 000000011D48: D87E0000 2500451C
	ds_bpermute_b32 v38, v28, v70                              // 000000011D50: D87E0000 2600461C
	ds_bpermute_b32 v39, v28, v71                              // 000000011D58: D87E0000 2700471C
	s_waitcnt lgkmcnt(4)                                       // 000000011D60: BF8CC47F
	buffer_store_dwordx4 v[32:35], v7, s[88:91], 0 offen       // 000000011D64: E07C1000 80162007
	s_mov_b32 s56, 64                                          // 000000011D6C: BEB800C0
	v_add_u32_e32 v7, s56, v7                                  // 000000011D70: 680E0E38
	s_waitcnt lgkmcnt(0)                                       // 000000011D74: BF8CC07F
	buffer_store_dwordx4 v[36:39], v8, s[88:91], 0 offen       // 000000011D78: E07C1000 80162408
	v_add_u32_e32 v8, s56, v8                                  // 000000011D80: 68101038
	v_cvt_pk_bf16_f32 v64, v96, v97                            // 000000011D84: D2680040 0002C360
	v_cvt_pk_bf16_f32 v65, v98, v99                            // 000000011D8C: D2680041 0002C762
	v_cvt_pk_bf16_f32 v66, v100, v101                          // 000000011D94: D2680042 0002CB64
	v_cvt_pk_bf16_f32 v67, v102, v103                          // 000000011D9C: D2680043 0002CF66
	v_cvt_pk_bf16_f32 v68, v104, v105                          // 000000011DA4: D2680044 0002D368
	v_cvt_pk_bf16_f32 v69, v106, v107                          // 000000011DAC: D2680045 0002D76A
	v_cvt_pk_bf16_f32 v70, v108, v109                          // 000000011DB4: D2680046 0002DB6C
	v_cvt_pk_bf16_f32 v71, v110, v111                          // 000000011DBC: D2680047 0002DF6E
	v_permlane32_swap_b32_e32 v64, v66                         // 000000011DC4: 7E80B542
	v_permlane32_swap_b32_e32 v65, v67                         // 000000011DC8: 7E82B543
	v_permlane32_swap_b32_e32 v68, v70                         // 000000011DCC: 7E88B546
	v_permlane32_swap_b32_e32 v69, v71                         // 000000011DD0: 7E8AB547
	s_nop 1                                                    // 000000011DD4: BF800001
	v_permlane16_swap_b32_e32 v64, v68                         // 000000011DD8: 7E80B344
	v_permlane16_swap_b32_e32 v65, v69                         // 000000011DDC: 7E82B345
	v_permlane16_swap_b32_e32 v66, v70                         // 000000011DE0: 7E84B346
	v_permlane16_swap_b32_e32 v67, v71                         // 000000011DE4: 7E86B347
	ds_bpermute_b32 v32, v28, v64                              // 000000011DE8: D87E0000 2000401C
	ds_bpermute_b32 v33, v28, v65                              // 000000011DF0: D87E0000 2100411C
	ds_bpermute_b32 v34, v28, v66                              // 000000011DF8: D87E0000 2200421C
	ds_bpermute_b32 v35, v28, v67                              // 000000011E00: D87E0000 2300431C
	ds_bpermute_b32 v36, v28, v68                              // 000000011E08: D87E0000 2400441C
	ds_bpermute_b32 v37, v28, v69                              // 000000011E10: D87E0000 2500451C
	ds_bpermute_b32 v38, v28, v70                              // 000000011E18: D87E0000 2600461C
	ds_bpermute_b32 v39, v28, v71                              // 000000011E20: D87E0000 2700471C
	s_waitcnt lgkmcnt(4)                                       // 000000011E28: BF8CC47F
	buffer_store_dwordx4 v[32:35], v7, s[88:91], 0 offen       // 000000011E2C: E07C1000 80162007
	s_mov_b32 s56, 64                                          // 000000011E34: BEB800C0
	v_add_u32_e32 v7, s56, v7                                  // 000000011E38: 680E0E38
	s_waitcnt lgkmcnt(0)                                       // 000000011E3C: BF8CC07F
	buffer_store_dwordx4 v[36:39], v8, s[88:91], 0 offen       // 000000011E40: E07C1000 80162408
	v_add_u32_e32 v8, s56, v8                                  // 000000011E48: 68101038
	v_cvt_pk_bf16_f32 v64, v112, v113                          // 000000011E4C: D2680040 0002E370
	v_cvt_pk_bf16_f32 v65, v114, v115                          // 000000011E54: D2680041 0002E772
	v_cvt_pk_bf16_f32 v66, v116, v117                          // 000000011E5C: D2680042 0002EB74
	v_cvt_pk_bf16_f32 v67, v118, v119                          // 000000011E64: D2680043 0002EF76
	v_cvt_pk_bf16_f32 v68, v120, v121                          // 000000011E6C: D2680044 0002F378
	v_cvt_pk_bf16_f32 v69, v122, v123                          // 000000011E74: D2680045 0002F77A
	v_cvt_pk_bf16_f32 v70, v124, v125                          // 000000011E7C: D2680046 0002FB7C
	v_cvt_pk_bf16_f32 v71, v126, v127                          // 000000011E84: D2680047 0002FF7E
	v_permlane32_swap_b32_e32 v64, v66                         // 000000011E8C: 7E80B542
	v_permlane32_swap_b32_e32 v65, v67                         // 000000011E90: 7E82B543
	v_permlane32_swap_b32_e32 v68, v70                         // 000000011E94: 7E88B546
	v_permlane32_swap_b32_e32 v69, v71                         // 000000011E98: 7E8AB547
	s_nop 1                                                    // 000000011E9C: BF800001
	v_permlane16_swap_b32_e32 v64, v68                         // 000000011EA0: 7E80B344
	v_permlane16_swap_b32_e32 v65, v69                         // 000000011EA4: 7E82B345
	v_permlane16_swap_b32_e32 v66, v70                         // 000000011EA8: 7E84B346
	v_permlane16_swap_b32_e32 v67, v71                         // 000000011EAC: 7E86B347
	ds_bpermute_b32 v32, v28, v64                              // 000000011EB0: D87E0000 2000401C
	ds_bpermute_b32 v33, v28, v65                              // 000000011EB8: D87E0000 2100411C
	ds_bpermute_b32 v34, v28, v66                              // 000000011EC0: D87E0000 2200421C
	ds_bpermute_b32 v35, v28, v67                              // 000000011EC8: D87E0000 2300431C
	ds_bpermute_b32 v36, v28, v68                              // 000000011ED0: D87E0000 2400441C
	ds_bpermute_b32 v37, v28, v69                              // 000000011ED8: D87E0000 2500451C
	ds_bpermute_b32 v38, v28, v70                              // 000000011EE0: D87E0000 2600461C
	ds_bpermute_b32 v39, v28, v71                              // 000000011EE8: D87E0000 2700471C
	s_waitcnt lgkmcnt(4)                                       // 000000011EF0: BF8CC47F
	buffer_store_dwordx4 v[32:35], v7, s[88:91], 0 offen       // 000000011EF4: E07C1000 80162007
	s_mov_b32 s56, 64                                          // 000000011EFC: BEB800C0
	v_add_u32_e32 v7, s56, v7                                  // 000000011F00: 680E0E38
	s_waitcnt lgkmcnt(0)                                       // 000000011F04: BF8CC07F
	buffer_store_dwordx4 v[36:39], v8, s[88:91], 0 offen       // 000000011F08: E07C1000 80162408
	v_add_u32_e32 v8, s56, v8                                  // 000000011F10: 68101038
	v_cvt_pk_bf16_f32 v64, v128, v129                          // 000000011F14: D2680040 00030380
	v_cvt_pk_bf16_f32 v65, v130, v131                          // 000000011F1C: D2680041 00030782
	v_cvt_pk_bf16_f32 v66, v132, v133                          // 000000011F24: D2680042 00030B84
	v_cvt_pk_bf16_f32 v67, v134, v135                          // 000000011F2C: D2680043 00030F86
	v_cvt_pk_bf16_f32 v68, v136, v137                          // 000000011F34: D2680044 00031388
	v_cvt_pk_bf16_f32 v69, v138, v139                          // 000000011F3C: D2680045 0003178A
	v_cvt_pk_bf16_f32 v70, v140, v141                          // 000000011F44: D2680046 00031B8C
	v_cvt_pk_bf16_f32 v71, v142, v143                          // 000000011F4C: D2680047 00031F8E
	v_permlane32_swap_b32_e32 v64, v66                         // 000000011F54: 7E80B542
	v_permlane32_swap_b32_e32 v65, v67                         // 000000011F58: 7E82B543
	v_permlane32_swap_b32_e32 v68, v70                         // 000000011F5C: 7E88B546
	v_permlane32_swap_b32_e32 v69, v71                         // 000000011F60: 7E8AB547
	s_nop 1                                                    // 000000011F64: BF800001
	v_permlane16_swap_b32_e32 v64, v68                         // 000000011F68: 7E80B344
	v_permlane16_swap_b32_e32 v65, v69                         // 000000011F6C: 7E82B345
	v_permlane16_swap_b32_e32 v66, v70                         // 000000011F70: 7E84B346
	v_permlane16_swap_b32_e32 v67, v71                         // 000000011F74: 7E86B347
	ds_bpermute_b32 v32, v28, v64                              // 000000011F78: D87E0000 2000401C
	ds_bpermute_b32 v33, v28, v65                              // 000000011F80: D87E0000 2100411C
	ds_bpermute_b32 v34, v28, v66                              // 000000011F88: D87E0000 2200421C
	ds_bpermute_b32 v35, v28, v67                              // 000000011F90: D87E0000 2300431C
	ds_bpermute_b32 v36, v28, v68                              // 000000011F98: D87E0000 2400441C
	ds_bpermute_b32 v37, v28, v69                              // 000000011FA0: D87E0000 2500451C
	ds_bpermute_b32 v38, v28, v70                              // 000000011FA8: D87E0000 2600461C
	ds_bpermute_b32 v39, v28, v71                              // 000000011FB0: D87E0000 2700471C
	s_waitcnt lgkmcnt(4)                                       // 000000011FB8: BF8CC47F
	buffer_store_dwordx4 v[32:35], v7, s[88:91], 0 offen       // 000000011FBC: E07C1000 80162007
	s_mov_b32 s56, 64                                          // 000000011FC4: BEB800C0
	v_add_u32_e32 v7, s56, v7                                  // 000000011FC8: 680E0E38
	s_waitcnt lgkmcnt(0)                                       // 000000011FCC: BF8CC07F
	buffer_store_dwordx4 v[36:39], v8, s[88:91], 0 offen       // 000000011FD0: E07C1000 80162408
	v_add_u32_e32 v8, s56, v8                                  // 000000011FD8: 68101038
	v_cvt_pk_bf16_f32 v64, v144, v145                          // 000000011FDC: D2680040 00032390
	v_cvt_pk_bf16_f32 v65, v146, v147                          // 000000011FE4: D2680041 00032792
	v_cvt_pk_bf16_f32 v66, v148, v149                          // 000000011FEC: D2680042 00032B94
	v_cvt_pk_bf16_f32 v67, v150, v151                          // 000000011FF4: D2680043 00032F96
	v_cvt_pk_bf16_f32 v68, v152, v153                          // 000000011FFC: D2680044 00033398
	v_cvt_pk_bf16_f32 v69, v154, v155                          // 000000012004: D2680045 0003379A
	v_cvt_pk_bf16_f32 v70, v156, v157                          // 00000001200C: D2680046 00033B9C
	v_cvt_pk_bf16_f32 v71, v158, v159                          // 000000012014: D2680047 00033F9E
	v_permlane32_swap_b32_e32 v64, v66                         // 00000001201C: 7E80B542
	v_permlane32_swap_b32_e32 v65, v67                         // 000000012020: 7E82B543
	v_permlane32_swap_b32_e32 v68, v70                         // 000000012024: 7E88B546
	v_permlane32_swap_b32_e32 v69, v71                         // 000000012028: 7E8AB547
	s_nop 1                                                    // 00000001202C: BF800001
	v_permlane16_swap_b32_e32 v64, v68                         // 000000012030: 7E80B344
	v_permlane16_swap_b32_e32 v65, v69                         // 000000012034: 7E82B345
	v_permlane16_swap_b32_e32 v66, v70                         // 000000012038: 7E84B346
	v_permlane16_swap_b32_e32 v67, v71                         // 00000001203C: 7E86B347
	ds_bpermute_b32 v32, v28, v64                              // 000000012040: D87E0000 2000401C
	ds_bpermute_b32 v33, v28, v65                              // 000000012048: D87E0000 2100411C
	ds_bpermute_b32 v34, v28, v66                              // 000000012050: D87E0000 2200421C
	ds_bpermute_b32 v35, v28, v67                              // 000000012058: D87E0000 2300431C
	ds_bpermute_b32 v36, v28, v68                              // 000000012060: D87E0000 2400441C
	ds_bpermute_b32 v37, v28, v69                              // 000000012068: D87E0000 2500451C
	ds_bpermute_b32 v38, v28, v70                              // 000000012070: D87E0000 2600461C
	ds_bpermute_b32 v39, v28, v71                              // 000000012078: D87E0000 2700471C
	s_waitcnt lgkmcnt(4)                                       // 000000012080: BF8CC47F
	buffer_store_dwordx4 v[32:35], v7, s[88:91], 0 offen       // 000000012084: E07C1000 80162007
	s_mov_b32 s56, 64                                          // 00000001208C: BEB800C0
	v_add_u32_e32 v7, s56, v7                                  // 000000012090: 680E0E38
	s_waitcnt lgkmcnt(0)                                       // 000000012094: BF8CC07F
	buffer_store_dwordx4 v[36:39], v8, s[88:91], 0 offen       // 000000012098: E07C1000 80162408
	v_add_u32_e32 v8, s56, v8                                  // 0000000120A0: 68101038
	v_cvt_pk_bf16_f32 v64, v160, v161                          // 0000000120A4: D2680040 000343A0
	v_cvt_pk_bf16_f32 v65, v162, v163                          // 0000000120AC: D2680041 000347A2
	v_cvt_pk_bf16_f32 v66, v164, v165                          // 0000000120B4: D2680042 00034BA4
	v_cvt_pk_bf16_f32 v67, v166, v167                          // 0000000120BC: D2680043 00034FA6
	v_cvt_pk_bf16_f32 v68, v168, v169                          // 0000000120C4: D2680044 000353A8
	v_cvt_pk_bf16_f32 v69, v170, v171                          // 0000000120CC: D2680045 000357AA
	v_cvt_pk_bf16_f32 v70, v172, v173                          // 0000000120D4: D2680046 00035BAC
	v_cvt_pk_bf16_f32 v71, v174, v175                          // 0000000120DC: D2680047 00035FAE
	v_permlane32_swap_b32_e32 v64, v66                         // 0000000120E4: 7E80B542
	v_permlane32_swap_b32_e32 v65, v67                         // 0000000120E8: 7E82B543
	v_permlane32_swap_b32_e32 v68, v70                         // 0000000120EC: 7E88B546
	v_permlane32_swap_b32_e32 v69, v71                         // 0000000120F0: 7E8AB547
	s_nop 1                                                    // 0000000120F4: BF800001
	v_permlane16_swap_b32_e32 v64, v68                         // 0000000120F8: 7E80B344
	v_permlane16_swap_b32_e32 v65, v69                         // 0000000120FC: 7E82B345
	v_permlane16_swap_b32_e32 v66, v70                         // 000000012100: 7E84B346
	v_permlane16_swap_b32_e32 v67, v71                         // 000000012104: 7E86B347
	ds_bpermute_b32 v32, v28, v64                              // 000000012108: D87E0000 2000401C
	ds_bpermute_b32 v33, v28, v65                              // 000000012110: D87E0000 2100411C
	ds_bpermute_b32 v34, v28, v66                              // 000000012118: D87E0000 2200421C
	ds_bpermute_b32 v35, v28, v67                              // 000000012120: D87E0000 2300431C
	ds_bpermute_b32 v36, v28, v68                              // 000000012128: D87E0000 2400441C
	ds_bpermute_b32 v37, v28, v69                              // 000000012130: D87E0000 2500451C
	ds_bpermute_b32 v38, v28, v70                              // 000000012138: D87E0000 2600461C
	ds_bpermute_b32 v39, v28, v71                              // 000000012140: D87E0000 2700471C
	s_waitcnt lgkmcnt(4)                                       // 000000012148: BF8CC47F
	buffer_store_dwordx4 v[32:35], v7, s[88:91], 0 offen       // 00000001214C: E07C1000 80162007
	s_mov_b32 s56, 64                                          // 000000012154: BEB800C0
	v_add_u32_e32 v7, s56, v7                                  // 000000012158: 680E0E38
	s_waitcnt lgkmcnt(0)                                       // 00000001215C: BF8CC07F
	buffer_store_dwordx4 v[36:39], v8, s[88:91], 0 offen       // 000000012160: E07C1000 80162408
	v_add_u32_e32 v8, s56, v8                                  // 000000012168: 68101038
	v_cvt_pk_bf16_f32 v64, v176, v177                          // 00000001216C: D2680040 000363B0
	v_cvt_pk_bf16_f32 v65, v178, v179                          // 000000012174: D2680041 000367B2
	v_cvt_pk_bf16_f32 v66, v180, v181                          // 00000001217C: D2680042 00036BB4
	v_cvt_pk_bf16_f32 v67, v182, v183                          // 000000012184: D2680043 00036FB6
	v_cvt_pk_bf16_f32 v68, v184, v185                          // 00000001218C: D2680044 000373B8
	v_cvt_pk_bf16_f32 v69, v186, v187                          // 000000012194: D2680045 000377BA
	v_cvt_pk_bf16_f32 v70, v188, v189                          // 00000001219C: D2680046 00037BBC
	v_cvt_pk_bf16_f32 v71, v190, v191                          // 0000000121A4: D2680047 00037FBE
	v_permlane32_swap_b32_e32 v64, v66                         // 0000000121AC: 7E80B542
	v_permlane32_swap_b32_e32 v65, v67                         // 0000000121B0: 7E82B543
	v_permlane32_swap_b32_e32 v68, v70                         // 0000000121B4: 7E88B546
	v_permlane32_swap_b32_e32 v69, v71                         // 0000000121B8: 7E8AB547
	s_nop 1                                                    // 0000000121BC: BF800001
	v_permlane16_swap_b32_e32 v64, v68                         // 0000000121C0: 7E80B344
	v_permlane16_swap_b32_e32 v65, v69                         // 0000000121C4: 7E82B345
	v_permlane16_swap_b32_e32 v66, v70                         // 0000000121C8: 7E84B346
	v_permlane16_swap_b32_e32 v67, v71                         // 0000000121CC: 7E86B347
	ds_bpermute_b32 v32, v28, v64                              // 0000000121D0: D87E0000 2000401C
	ds_bpermute_b32 v33, v28, v65                              // 0000000121D8: D87E0000 2100411C
	ds_bpermute_b32 v34, v28, v66                              // 0000000121E0: D87E0000 2200421C
	ds_bpermute_b32 v35, v28, v67                              // 0000000121E8: D87E0000 2300431C
	ds_bpermute_b32 v36, v28, v68                              // 0000000121F0: D87E0000 2400441C
	ds_bpermute_b32 v37, v28, v69                              // 0000000121F8: D87E0000 2500451C
	ds_bpermute_b32 v38, v28, v70                              // 000000012200: D87E0000 2600461C
	ds_bpermute_b32 v39, v28, v71                              // 000000012208: D87E0000 2700471C
	s_waitcnt lgkmcnt(4)                                       // 000000012210: BF8CC47F
	buffer_store_dwordx4 v[32:35], v7, s[88:91], 0 offen       // 000000012214: E07C1000 80162007
	s_mov_b32 s56, 64                                          // 00000001221C: BEB800C0
	v_add_u32_e32 v7, s56, v7                                  // 000000012220: 680E0E38
	s_waitcnt lgkmcnt(0)                                       // 000000012224: BF8CC07F
	buffer_store_dwordx4 v[36:39], v8, s[88:91], 0 offen       // 000000012228: E07C1000 80162408
	v_add_u32_e32 v8, s56, v8                                  // 000000012230: 68101038
	v_cvt_pk_bf16_f32 v64, v192, v193                          // 000000012234: D2680040 000383C0
	v_cvt_pk_bf16_f32 v65, v194, v195                          // 00000001223C: D2680041 000387C2
	v_cvt_pk_bf16_f32 v66, v196, v197                          // 000000012244: D2680042 00038BC4
	v_cvt_pk_bf16_f32 v67, v198, v199                          // 00000001224C: D2680043 00038FC6
	v_cvt_pk_bf16_f32 v68, v200, v201                          // 000000012254: D2680044 000393C8
	v_cvt_pk_bf16_f32 v69, v202, v203                          // 00000001225C: D2680045 000397CA
	v_cvt_pk_bf16_f32 v70, v204, v205                          // 000000012264: D2680046 00039BCC
	v_cvt_pk_bf16_f32 v71, v206, v207                          // 00000001226C: D2680047 00039FCE
	v_permlane32_swap_b32_e32 v64, v66                         // 000000012274: 7E80B542
	v_permlane32_swap_b32_e32 v65, v67                         // 000000012278: 7E82B543
	v_permlane32_swap_b32_e32 v68, v70                         // 00000001227C: 7E88B546
	v_permlane32_swap_b32_e32 v69, v71                         // 000000012280: 7E8AB547
	s_nop 1                                                    // 000000012284: BF800001
	v_permlane16_swap_b32_e32 v64, v68                         // 000000012288: 7E80B344
	v_permlane16_swap_b32_e32 v65, v69                         // 00000001228C: 7E82B345
	v_permlane16_swap_b32_e32 v66, v70                         // 000000012290: 7E84B346
	v_permlane16_swap_b32_e32 v67, v71                         // 000000012294: 7E86B347
	ds_bpermute_b32 v32, v28, v64                              // 000000012298: D87E0000 2000401C
	ds_bpermute_b32 v33, v28, v65                              // 0000000122A0: D87E0000 2100411C
	ds_bpermute_b32 v34, v28, v66                              // 0000000122A8: D87E0000 2200421C
	ds_bpermute_b32 v35, v28, v67                              // 0000000122B0: D87E0000 2300431C
	ds_bpermute_b32 v36, v28, v68                              // 0000000122B8: D87E0000 2400441C
	ds_bpermute_b32 v37, v28, v69                              // 0000000122C0: D87E0000 2500451C
	ds_bpermute_b32 v38, v28, v70                              // 0000000122C8: D87E0000 2600461C
	ds_bpermute_b32 v39, v28, v71                              // 0000000122D0: D87E0000 2700471C
	s_waitcnt lgkmcnt(4)                                       // 0000000122D8: BF8CC47F
	buffer_store_dwordx4 v[32:35], v7, s[88:91], 0 offen       // 0000000122DC: E07C1000 80162007
	s_mov_b32 s56, 64                                          // 0000000122E4: BEB800C0
	v_add_u32_e32 v7, s56, v7                                  // 0000000122E8: 680E0E38
	s_waitcnt lgkmcnt(0)                                       // 0000000122EC: BF8CC07F
	buffer_store_dwordx4 v[36:39], v8, s[88:91], 0 offen       // 0000000122F0: E07C1000 80162408
	v_add_u32_e32 v8, s56, v8                                  // 0000000122F8: 68101038
	v_cvt_pk_bf16_f32 v64, v208, v209                          // 0000000122FC: D2680040 0003A3D0
	v_cvt_pk_bf16_f32 v65, v210, v211                          // 000000012304: D2680041 0003A7D2
	v_cvt_pk_bf16_f32 v66, v212, v213                          // 00000001230C: D2680042 0003ABD4
	v_cvt_pk_bf16_f32 v67, v214, v215                          // 000000012314: D2680043 0003AFD6
	v_cvt_pk_bf16_f32 v68, v216, v217                          // 00000001231C: D2680044 0003B3D8
	v_cvt_pk_bf16_f32 v69, v218, v219                          // 000000012324: D2680045 0003B7DA
	v_cvt_pk_bf16_f32 v70, v220, v221                          // 00000001232C: D2680046 0003BBDC
	v_cvt_pk_bf16_f32 v71, v222, v223                          // 000000012334: D2680047 0003BFDE
	v_permlane32_swap_b32_e32 v64, v66                         // 00000001233C: 7E80B542
	v_permlane32_swap_b32_e32 v65, v67                         // 000000012340: 7E82B543
	v_permlane32_swap_b32_e32 v68, v70                         // 000000012344: 7E88B546
	v_permlane32_swap_b32_e32 v69, v71                         // 000000012348: 7E8AB547
	s_nop 1                                                    // 00000001234C: BF800001
	v_permlane16_swap_b32_e32 v64, v68                         // 000000012350: 7E80B344
	v_permlane16_swap_b32_e32 v65, v69                         // 000000012354: 7E82B345
	v_permlane16_swap_b32_e32 v66, v70                         // 000000012358: 7E84B346
	v_permlane16_swap_b32_e32 v67, v71                         // 00000001235C: 7E86B347
	ds_bpermute_b32 v32, v28, v64                              // 000000012360: D87E0000 2000401C
	ds_bpermute_b32 v33, v28, v65                              // 000000012368: D87E0000 2100411C
	ds_bpermute_b32 v34, v28, v66                              // 000000012370: D87E0000 2200421C
	ds_bpermute_b32 v35, v28, v67                              // 000000012378: D87E0000 2300431C
	ds_bpermute_b32 v36, v28, v68                              // 000000012380: D87E0000 2400441C
	ds_bpermute_b32 v37, v28, v69                              // 000000012388: D87E0000 2500451C
	ds_bpermute_b32 v38, v28, v70                              // 000000012390: D87E0000 2600461C
	ds_bpermute_b32 v39, v28, v71                              // 000000012398: D87E0000 2700471C
	s_waitcnt lgkmcnt(4)                                       // 0000000123A0: BF8CC47F
	buffer_store_dwordx4 v[32:35], v7, s[88:91], 0 offen       // 0000000123A4: E07C1000 80162007
	s_mov_b32 s56, 64                                          // 0000000123AC: BEB800C0
	v_add_u32_e32 v7, s56, v7                                  // 0000000123B0: 680E0E38
	s_waitcnt lgkmcnt(0)                                       // 0000000123B4: BF8CC07F
	buffer_store_dwordx4 v[36:39], v8, s[88:91], 0 offen       // 0000000123B8: E07C1000 80162408
	v_add_u32_e32 v8, s56, v8                                  // 0000000123C0: 68101038
	v_and_b32_e32 v28, 1, v0                                   // 0000000123C4: 26380081
	v_lshlrev_b32_e32 v28, 5, v28                              // 0000000123C8: 24383885
	v_and_b32_e32 v29, 3, v0                                   // 0000000123CC: 263A0083
	v_lshrrev_b32_e32 v29, 1, v29                              // 0000000123D0: 203A3A81
	v_lshlrev_b32_e32 v29, 4, v29                              // 0000000123D4: 243A3A84
	v_add_u32_e32 v28, v28, v29                                // 0000000123D8: 68383B1C
	v_lshrrev_b32_e32 v29, 2, v0                               // 0000000123DC: 203A0082
	v_add_u32_e32 v28, v28, v29                                // 0000000123E0: 68383B1C
	v_lshlrev_b32_e32 v28, 2, v28                              // 0000000123E4: 24383882
	v_lshlrev_b32_e32 v30, 4, v0                               // 0000000123E8: 243C0084
	v_accvgpr_read_b32 v64, a144                               // 0000000123EC: D3D84040 18000190
	v_accvgpr_read_b32 v65, a145                               // 0000000123F4: D3D84041 18000191
	v_accvgpr_read_b32 v66, a146                               // 0000000123FC: D3D84042 18000192
	v_accvgpr_read_b32 v67, a147                               // 000000012404: D3D84043 18000193
	v_accvgpr_read_b32 v68, a148                               // 00000001240C: D3D84044 18000194
	v_accvgpr_read_b32 v69, a149                               // 000000012414: D3D84045 18000195
	v_accvgpr_read_b32 v70, a150                               // 00000001241C: D3D84046 18000196
	v_accvgpr_read_b32 v71, a151                               // 000000012424: D3D84047 18000197
	v_accvgpr_read_b32 v72, a152                               // 00000001242C: D3D84048 18000198
	v_accvgpr_read_b32 v73, a153                               // 000000012434: D3D84049 18000199
	v_accvgpr_read_b32 v74, a154                               // 00000001243C: D3D8404A 1800019A
	v_accvgpr_read_b32 v75, a155                               // 000000012444: D3D8404B 1800019B
	v_accvgpr_read_b32 v76, a156                               // 00000001244C: D3D8404C 1800019C
	v_accvgpr_read_b32 v77, a157                               // 000000012454: D3D8404D 1800019D
	v_accvgpr_read_b32 v78, a158                               // 00000001245C: D3D8404E 1800019E
	v_accvgpr_read_b32 v79, a159                               // 000000012464: D3D8404F 1800019F
	v_cvt_pk_bf16_f32 v64, v64, v65                            // 00000001246C: D2680040 00028340
	v_cvt_pk_bf16_f32 v65, v66, v67                            // 000000012474: D2680041 00028742
	v_cvt_pk_bf16_f32 v66, v68, v69                            // 00000001247C: D2680042 00028B44
	v_cvt_pk_bf16_f32 v67, v70, v71                            // 000000012484: D2680043 00028F46
	v_cvt_pk_bf16_f32 v68, v72, v73                            // 00000001248C: D2680044 00029348
	v_cvt_pk_bf16_f32 v69, v74, v75                            // 000000012494: D2680045 0002974A
	v_cvt_pk_bf16_f32 v70, v76, v77                            // 00000001249C: D2680046 00029B4C
	v_cvt_pk_bf16_f32 v71, v78, v79                            // 0000000124A4: D2680047 00029F4E
	v_permlane32_swap_b32_e32 v64, v66                         // 0000000124AC: 7E80B542
	v_permlane32_swap_b32_e32 v65, v67                         // 0000000124B0: 7E82B543
	v_permlane32_swap_b32_e32 v68, v70                         // 0000000124B4: 7E88B546
	v_permlane32_swap_b32_e32 v69, v71                         // 0000000124B8: 7E8AB547
	s_nop 1                                                    // 0000000124BC: BF800001
	v_permlane16_swap_b32_e32 v64, v68                         // 0000000124C0: 7E80B344
	v_permlane16_swap_b32_e32 v65, v69                         // 0000000124C4: 7E82B345
	v_permlane16_swap_b32_e32 v66, v70                         // 0000000124C8: 7E84B346
	v_permlane16_swap_b32_e32 v67, v71                         // 0000000124CC: 7E86B347
	ds_bpermute_b32 v32, v28, v64                              // 0000000124D0: D87E0000 2000401C
	ds_bpermute_b32 v33, v28, v65                              // 0000000124D8: D87E0000 2100411C
	ds_bpermute_b32 v34, v28, v66                              // 0000000124E0: D87E0000 2200421C
	ds_bpermute_b32 v35, v28, v67                              // 0000000124E8: D87E0000 2300431C
	ds_bpermute_b32 v36, v28, v68                              // 0000000124F0: D87E0000 2400441C
	ds_bpermute_b32 v37, v28, v69                              // 0000000124F8: D87E0000 2500451C
	ds_bpermute_b32 v38, v28, v70                              // 000000012500: D87E0000 2600461C
	ds_bpermute_b32 v39, v28, v71                              // 000000012508: D87E0000 2700471C
	s_waitcnt lgkmcnt(4)                                       // 000000012510: BF8CC47F
	buffer_store_dwordx4 v[32:35], v7, s[88:91], 0 offen       // 000000012514: E07C1000 80162007
	s_mov_b32 s56, 64                                          // 00000001251C: BEB800C0
	v_add_u32_e32 v7, s56, v7                                  // 000000012520: 680E0E38
	s_waitcnt lgkmcnt(0)                                       // 000000012524: BF8CC07F
	buffer_store_dwordx4 v[36:39], v8, s[88:91], 0 offen       // 000000012528: E07C1000 80162408
	v_add_u32_e32 v8, s56, v8                                  // 000000012530: 68101038
	v_accvgpr_read_b32 v64, a160                               // 000000012534: D3D84040 180001A0
	v_accvgpr_read_b32 v65, a161                               // 00000001253C: D3D84041 180001A1
	v_accvgpr_read_b32 v66, a162                               // 000000012544: D3D84042 180001A2
	v_accvgpr_read_b32 v67, a163                               // 00000001254C: D3D84043 180001A3
	v_accvgpr_read_b32 v68, a164                               // 000000012554: D3D84044 180001A4
	v_accvgpr_read_b32 v69, a165                               // 00000001255C: D3D84045 180001A5
	v_accvgpr_read_b32 v70, a166                               // 000000012564: D3D84046 180001A6
	v_accvgpr_read_b32 v71, a167                               // 00000001256C: D3D84047 180001A7
	v_accvgpr_read_b32 v72, a168                               // 000000012574: D3D84048 180001A8
	v_accvgpr_read_b32 v73, a169                               // 00000001257C: D3D84049 180001A9
	v_accvgpr_read_b32 v74, a170                               // 000000012584: D3D8404A 180001AA
	v_accvgpr_read_b32 v75, a171                               // 00000001258C: D3D8404B 180001AB
	v_accvgpr_read_b32 v76, a172                               // 000000012594: D3D8404C 180001AC
	v_accvgpr_read_b32 v77, a173                               // 00000001259C: D3D8404D 180001AD
	v_accvgpr_read_b32 v78, a174                               // 0000000125A4: D3D8404E 180001AE
	v_accvgpr_read_b32 v79, a175                               // 0000000125AC: D3D8404F 180001AF
	v_cvt_pk_bf16_f32 v64, v64, v65                            // 0000000125B4: D2680040 00028340
	v_cvt_pk_bf16_f32 v65, v66, v67                            // 0000000125BC: D2680041 00028742
	v_cvt_pk_bf16_f32 v66, v68, v69                            // 0000000125C4: D2680042 00028B44
	v_cvt_pk_bf16_f32 v67, v70, v71                            // 0000000125CC: D2680043 00028F46
	v_cvt_pk_bf16_f32 v68, v72, v73                            // 0000000125D4: D2680044 00029348
	v_cvt_pk_bf16_f32 v69, v74, v75                            // 0000000125DC: D2680045 0002974A
	v_cvt_pk_bf16_f32 v70, v76, v77                            // 0000000125E4: D2680046 00029B4C
	v_cvt_pk_bf16_f32 v71, v78, v79                            // 0000000125EC: D2680047 00029F4E
	v_permlane32_swap_b32_e32 v64, v66                         // 0000000125F4: 7E80B542
	v_permlane32_swap_b32_e32 v65, v67                         // 0000000125F8: 7E82B543
	v_permlane32_swap_b32_e32 v68, v70                         // 0000000125FC: 7E88B546
	v_permlane32_swap_b32_e32 v69, v71                         // 000000012600: 7E8AB547
	s_nop 1                                                    // 000000012604: BF800001
	v_permlane16_swap_b32_e32 v64, v68                         // 000000012608: 7E80B344
	v_permlane16_swap_b32_e32 v65, v69                         // 00000001260C: 7E82B345
	v_permlane16_swap_b32_e32 v66, v70                         // 000000012610: 7E84B346
	v_permlane16_swap_b32_e32 v67, v71                         // 000000012614: 7E86B347
	ds_bpermute_b32 v32, v28, v64                              // 000000012618: D87E0000 2000401C
	ds_bpermute_b32 v33, v28, v65                              // 000000012620: D87E0000 2100411C
	ds_bpermute_b32 v34, v28, v66                              // 000000012628: D87E0000 2200421C
	ds_bpermute_b32 v35, v28, v67                              // 000000012630: D87E0000 2300431C
	ds_bpermute_b32 v36, v28, v68                              // 000000012638: D87E0000 2400441C
	ds_bpermute_b32 v37, v28, v69                              // 000000012640: D87E0000 2500451C
	ds_bpermute_b32 v38, v28, v70                              // 000000012648: D87E0000 2600461C
	ds_bpermute_b32 v39, v28, v71                              // 000000012650: D87E0000 2700471C
	s_waitcnt lgkmcnt(4)                                       // 000000012658: BF8CC47F
	buffer_store_dwordx4 v[32:35], v7, s[88:91], 0 offen       // 00000001265C: E07C1000 80162007
	s_mov_b32 s56, 64                                          // 000000012664: BEB800C0
	v_add_u32_e32 v7, s56, v7                                  // 000000012668: 680E0E38
	s_waitcnt lgkmcnt(0)                                       // 00000001266C: BF8CC07F
	buffer_store_dwordx4 v[36:39], v8, s[88:91], 0 offen       // 000000012670: E07C1000 80162408
	v_add_u32_e32 v8, s56, v8                                  // 000000012678: 68101038
	v_accvgpr_read_b32 v64, a176                               // 00000001267C: D3D84040 180001B0
	v_accvgpr_read_b32 v65, a177                               // 000000012684: D3D84041 180001B1
	v_accvgpr_read_b32 v66, a178                               // 00000001268C: D3D84042 180001B2
	v_accvgpr_read_b32 v67, a179                               // 000000012694: D3D84043 180001B3
	v_accvgpr_read_b32 v68, a180                               // 00000001269C: D3D84044 180001B4
	v_accvgpr_read_b32 v69, a181                               // 0000000126A4: D3D84045 180001B5
	v_accvgpr_read_b32 v70, a182                               // 0000000126AC: D3D84046 180001B6
	v_accvgpr_read_b32 v71, a183                               // 0000000126B4: D3D84047 180001B7
	v_accvgpr_read_b32 v72, a184                               // 0000000126BC: D3D84048 180001B8
	v_accvgpr_read_b32 v73, a185                               // 0000000126C4: D3D84049 180001B9
	v_accvgpr_read_b32 v74, a186                               // 0000000126CC: D3D8404A 180001BA
	v_accvgpr_read_b32 v75, a187                               // 0000000126D4: D3D8404B 180001BB
	v_accvgpr_read_b32 v76, a188                               // 0000000126DC: D3D8404C 180001BC
	v_accvgpr_read_b32 v77, a189                               // 0000000126E4: D3D8404D 180001BD
	v_accvgpr_read_b32 v78, a190                               // 0000000126EC: D3D8404E 180001BE
	v_accvgpr_read_b32 v79, a191                               // 0000000126F4: D3D8404F 180001BF
	v_cvt_pk_bf16_f32 v64, v64, v65                            // 0000000126FC: D2680040 00028340
	v_cvt_pk_bf16_f32 v65, v66, v67                            // 000000012704: D2680041 00028742
	v_cvt_pk_bf16_f32 v66, v68, v69                            // 00000001270C: D2680042 00028B44
	v_cvt_pk_bf16_f32 v67, v70, v71                            // 000000012714: D2680043 00028F46
	v_cvt_pk_bf16_f32 v68, v72, v73                            // 00000001271C: D2680044 00029348
	v_cvt_pk_bf16_f32 v69, v74, v75                            // 000000012724: D2680045 0002974A
	v_cvt_pk_bf16_f32 v70, v76, v77                            // 00000001272C: D2680046 00029B4C
	v_cvt_pk_bf16_f32 v71, v78, v79                            // 000000012734: D2680047 00029F4E
	v_permlane32_swap_b32_e32 v64, v66                         // 00000001273C: 7E80B542
	v_permlane32_swap_b32_e32 v65, v67                         // 000000012740: 7E82B543
	v_permlane32_swap_b32_e32 v68, v70                         // 000000012744: 7E88B546
	v_permlane32_swap_b32_e32 v69, v71                         // 000000012748: 7E8AB547
	s_nop 1                                                    // 00000001274C: BF800001
	v_permlane16_swap_b32_e32 v64, v68                         // 000000012750: 7E80B344
	v_permlane16_swap_b32_e32 v65, v69                         // 000000012754: 7E82B345
	v_permlane16_swap_b32_e32 v66, v70                         // 000000012758: 7E84B346
	v_permlane16_swap_b32_e32 v67, v71                         // 00000001275C: 7E86B347
	ds_bpermute_b32 v32, v28, v64                              // 000000012760: D87E0000 2000401C
	ds_bpermute_b32 v33, v28, v65                              // 000000012768: D87E0000 2100411C
	ds_bpermute_b32 v34, v28, v66                              // 000000012770: D87E0000 2200421C
	ds_bpermute_b32 v35, v28, v67                              // 000000012778: D87E0000 2300431C
	ds_bpermute_b32 v36, v28, v68                              // 000000012780: D87E0000 2400441C
	ds_bpermute_b32 v37, v28, v69                              // 000000012788: D87E0000 2500451C
	ds_bpermute_b32 v38, v28, v70                              // 000000012790: D87E0000 2600461C
	ds_bpermute_b32 v39, v28, v71                              // 000000012798: D87E0000 2700471C
	s_waitcnt lgkmcnt(4)                                       // 0000000127A0: BF8CC47F
	buffer_store_dwordx4 v[32:35], v7, s[88:91], 0 offen       // 0000000127A4: E07C1000 80162007
	s_mov_b32 s56, 64                                          // 0000000127AC: BEB800C0
	v_add_u32_e32 v7, s56, v7                                  // 0000000127B0: 680E0E38
	s_waitcnt lgkmcnt(0)                                       // 0000000127B4: BF8CC07F
	buffer_store_dwordx4 v[36:39], v8, s[88:91], 0 offen       // 0000000127B8: E07C1000 80162408
	v_add_u32_e32 v8, s56, v8                                  // 0000000127C0: 68101038
	v_accvgpr_read_b32 v64, a192                               // 0000000127C4: D3D84040 180001C0
	v_accvgpr_read_b32 v65, a193                               // 0000000127CC: D3D84041 180001C1
	v_accvgpr_read_b32 v66, a194                               // 0000000127D4: D3D84042 180001C2
	v_accvgpr_read_b32 v67, a195                               // 0000000127DC: D3D84043 180001C3
	v_accvgpr_read_b32 v68, a196                               // 0000000127E4: D3D84044 180001C4
	v_accvgpr_read_b32 v69, a197                               // 0000000127EC: D3D84045 180001C5
	v_accvgpr_read_b32 v70, a198                               // 0000000127F4: D3D84046 180001C6
	v_accvgpr_read_b32 v71, a199                               // 0000000127FC: D3D84047 180001C7
	v_accvgpr_read_b32 v72, a200                               // 000000012804: D3D84048 180001C8
	v_accvgpr_read_b32 v73, a201                               // 00000001280C: D3D84049 180001C9
	v_accvgpr_read_b32 v74, a202                               // 000000012814: D3D8404A 180001CA
	v_accvgpr_read_b32 v75, a203                               // 00000001281C: D3D8404B 180001CB
	v_accvgpr_read_b32 v76, a204                               // 000000012824: D3D8404C 180001CC
	v_accvgpr_read_b32 v77, a205                               // 00000001282C: D3D8404D 180001CD
	v_accvgpr_read_b32 v78, a206                               // 000000012834: D3D8404E 180001CE
	v_accvgpr_read_b32 v79, a207                               // 00000001283C: D3D8404F 180001CF
	v_cvt_pk_bf16_f32 v64, v64, v65                            // 000000012844: D2680040 00028340
	v_cvt_pk_bf16_f32 v65, v66, v67                            // 00000001284C: D2680041 00028742
	v_cvt_pk_bf16_f32 v66, v68, v69                            // 000000012854: D2680042 00028B44
	v_cvt_pk_bf16_f32 v67, v70, v71                            // 00000001285C: D2680043 00028F46
	v_cvt_pk_bf16_f32 v68, v72, v73                            // 000000012864: D2680044 00029348
	v_cvt_pk_bf16_f32 v69, v74, v75                            // 00000001286C: D2680045 0002974A
	v_cvt_pk_bf16_f32 v70, v76, v77                            // 000000012874: D2680046 00029B4C
	v_cvt_pk_bf16_f32 v71, v78, v79                            // 00000001287C: D2680047 00029F4E
	v_permlane32_swap_b32_e32 v64, v66                         // 000000012884: 7E80B542
	v_permlane32_swap_b32_e32 v65, v67                         // 000000012888: 7E82B543
	v_permlane32_swap_b32_e32 v68, v70                         // 00000001288C: 7E88B546
	v_permlane32_swap_b32_e32 v69, v71                         // 000000012890: 7E8AB547
	s_nop 1                                                    // 000000012894: BF800001
	v_permlane16_swap_b32_e32 v64, v68                         // 000000012898: 7E80B344
	v_permlane16_swap_b32_e32 v65, v69                         // 00000001289C: 7E82B345
	v_permlane16_swap_b32_e32 v66, v70                         // 0000000128A0: 7E84B346
	v_permlane16_swap_b32_e32 v67, v71                         // 0000000128A4: 7E86B347
	ds_bpermute_b32 v32, v28, v64                              // 0000000128A8: D87E0000 2000401C
	ds_bpermute_b32 v33, v28, v65                              // 0000000128B0: D87E0000 2100411C
	ds_bpermute_b32 v34, v28, v66                              // 0000000128B8: D87E0000 2200421C
	ds_bpermute_b32 v35, v28, v67                              // 0000000128C0: D87E0000 2300431C
	ds_bpermute_b32 v36, v28, v68                              // 0000000128C8: D87E0000 2400441C
	ds_bpermute_b32 v37, v28, v69                              // 0000000128D0: D87E0000 2500451C
	ds_bpermute_b32 v38, v28, v70                              // 0000000128D8: D87E0000 2600461C
	ds_bpermute_b32 v39, v28, v71                              // 0000000128E0: D87E0000 2700471C
	s_waitcnt lgkmcnt(4)                                       // 0000000128E8: BF8CC47F
	buffer_store_dwordx4 v[32:35], v7, s[88:91], 0 offen       // 0000000128EC: E07C1000 80162007
	s_mov_b32 s56, 64                                          // 0000000128F4: BEB800C0
	v_add_u32_e32 v7, s56, v7                                  // 0000000128F8: 680E0E38
	s_waitcnt lgkmcnt(0)                                       // 0000000128FC: BF8CC07F
	buffer_store_dwordx4 v[36:39], v8, s[88:91], 0 offen       // 000000012900: E07C1000 80162408
	v_add_u32_e32 v8, s56, v8                                  // 000000012908: 68101038
	v_accvgpr_read_b32 v64, a208                               // 00000001290C: D3D84040 180001D0
	v_accvgpr_read_b32 v65, a209                               // 000000012914: D3D84041 180001D1
	v_accvgpr_read_b32 v66, a210                               // 00000001291C: D3D84042 180001D2
	v_accvgpr_read_b32 v67, a211                               // 000000012924: D3D84043 180001D3
	v_accvgpr_read_b32 v68, a212                               // 00000001292C: D3D84044 180001D4
	v_accvgpr_read_b32 v69, a213                               // 000000012934: D3D84045 180001D5
	v_accvgpr_read_b32 v70, a214                               // 00000001293C: D3D84046 180001D6
	v_accvgpr_read_b32 v71, a215                               // 000000012944: D3D84047 180001D7
	v_accvgpr_read_b32 v72, a216                               // 00000001294C: D3D84048 180001D8
	v_accvgpr_read_b32 v73, a217                               // 000000012954: D3D84049 180001D9
	v_accvgpr_read_b32 v74, a218                               // 00000001295C: D3D8404A 180001DA
	v_accvgpr_read_b32 v75, a219                               // 000000012964: D3D8404B 180001DB
	v_accvgpr_read_b32 v76, a220                               // 00000001296C: D3D8404C 180001DC
	v_accvgpr_read_b32 v77, a221                               // 000000012974: D3D8404D 180001DD
	v_accvgpr_read_b32 v78, a222                               // 00000001297C: D3D8404E 180001DE
	v_accvgpr_read_b32 v79, a223                               // 000000012984: D3D8404F 180001DF
	v_cvt_pk_bf16_f32 v64, v64, v65                            // 00000001298C: D2680040 00028340
	v_cvt_pk_bf16_f32 v65, v66, v67                            // 000000012994: D2680041 00028742
	v_cvt_pk_bf16_f32 v66, v68, v69                            // 00000001299C: D2680042 00028B44
	v_cvt_pk_bf16_f32 v67, v70, v71                            // 0000000129A4: D2680043 00028F46
	v_cvt_pk_bf16_f32 v68, v72, v73                            // 0000000129AC: D2680044 00029348
	v_cvt_pk_bf16_f32 v69, v74, v75                            // 0000000129B4: D2680045 0002974A
	v_cvt_pk_bf16_f32 v70, v76, v77                            // 0000000129BC: D2680046 00029B4C
	v_cvt_pk_bf16_f32 v71, v78, v79                            // 0000000129C4: D2680047 00029F4E
	v_permlane32_swap_b32_e32 v64, v66                         // 0000000129CC: 7E80B542
	v_permlane32_swap_b32_e32 v65, v67                         // 0000000129D0: 7E82B543
	v_permlane32_swap_b32_e32 v68, v70                         // 0000000129D4: 7E88B546
	v_permlane32_swap_b32_e32 v69, v71                         // 0000000129D8: 7E8AB547
	s_nop 1                                                    // 0000000129DC: BF800001
	v_permlane16_swap_b32_e32 v64, v68                         // 0000000129E0: 7E80B344
	v_permlane16_swap_b32_e32 v65, v69                         // 0000000129E4: 7E82B345
	v_permlane16_swap_b32_e32 v66, v70                         // 0000000129E8: 7E84B346
	v_permlane16_swap_b32_e32 v67, v71                         // 0000000129EC: 7E86B347
	ds_bpermute_b32 v32, v28, v64                              // 0000000129F0: D87E0000 2000401C
	ds_bpermute_b32 v33, v28, v65                              // 0000000129F8: D87E0000 2100411C
	ds_bpermute_b32 v34, v28, v66                              // 000000012A00: D87E0000 2200421C
	ds_bpermute_b32 v35, v28, v67                              // 000000012A08: D87E0000 2300431C
	ds_bpermute_b32 v36, v28, v68                              // 000000012A10: D87E0000 2400441C
	ds_bpermute_b32 v37, v28, v69                              // 000000012A18: D87E0000 2500451C
	ds_bpermute_b32 v38, v28, v70                              // 000000012A20: D87E0000 2600461C
	ds_bpermute_b32 v39, v28, v71                              // 000000012A28: D87E0000 2700471C
	s_waitcnt lgkmcnt(4)                                       // 000000012A30: BF8CC47F
	buffer_store_dwordx4 v[32:35], v7, s[88:91], 0 offen       // 000000012A34: E07C1000 80162007
	s_mov_b32 s56, 64                                          // 000000012A3C: BEB800C0
	v_add_u32_e32 v7, s56, v7                                  // 000000012A40: 680E0E38
	s_waitcnt lgkmcnt(0)                                       // 000000012A44: BF8CC07F
	buffer_store_dwordx4 v[36:39], v8, s[88:91], 0 offen       // 000000012A48: E07C1000 80162408
	v_add_u32_e32 v8, s56, v8                                  // 000000012A50: 68101038
	v_accvgpr_read_b32 v64, a224                               // 000000012A54: D3D84040 180001E0
	v_accvgpr_read_b32 v65, a225                               // 000000012A5C: D3D84041 180001E1
	v_accvgpr_read_b32 v66, a226                               // 000000012A64: D3D84042 180001E2
	v_accvgpr_read_b32 v67, a227                               // 000000012A6C: D3D84043 180001E3
	v_accvgpr_read_b32 v68, a228                               // 000000012A74: D3D84044 180001E4
	v_accvgpr_read_b32 v69, a229                               // 000000012A7C: D3D84045 180001E5
	v_accvgpr_read_b32 v70, a230                               // 000000012A84: D3D84046 180001E6
	v_accvgpr_read_b32 v71, a231                               // 000000012A8C: D3D84047 180001E7
	v_accvgpr_read_b32 v72, a232                               // 000000012A94: D3D84048 180001E8
	v_accvgpr_read_b32 v73, a233                               // 000000012A9C: D3D84049 180001E9
	v_accvgpr_read_b32 v74, a234                               // 000000012AA4: D3D8404A 180001EA
	v_accvgpr_read_b32 v75, a235                               // 000000012AAC: D3D8404B 180001EB
	v_accvgpr_read_b32 v76, a236                               // 000000012AB4: D3D8404C 180001EC
	v_accvgpr_read_b32 v77, a237                               // 000000012ABC: D3D8404D 180001ED
	v_accvgpr_read_b32 v78, a238                               // 000000012AC4: D3D8404E 180001EE
	v_accvgpr_read_b32 v79, a239                               // 000000012ACC: D3D8404F 180001EF
	v_cvt_pk_bf16_f32 v64, v64, v65                            // 000000012AD4: D2680040 00028340
	v_cvt_pk_bf16_f32 v65, v66, v67                            // 000000012ADC: D2680041 00028742
	v_cvt_pk_bf16_f32 v66, v68, v69                            // 000000012AE4: D2680042 00028B44
	v_cvt_pk_bf16_f32 v67, v70, v71                            // 000000012AEC: D2680043 00028F46
	v_cvt_pk_bf16_f32 v68, v72, v73                            // 000000012AF4: D2680044 00029348
	v_cvt_pk_bf16_f32 v69, v74, v75                            // 000000012AFC: D2680045 0002974A
	v_cvt_pk_bf16_f32 v70, v76, v77                            // 000000012B04: D2680046 00029B4C
	v_cvt_pk_bf16_f32 v71, v78, v79                            // 000000012B0C: D2680047 00029F4E
	v_permlane32_swap_b32_e32 v64, v66                         // 000000012B14: 7E80B542
	v_permlane32_swap_b32_e32 v65, v67                         // 000000012B18: 7E82B543
	v_permlane32_swap_b32_e32 v68, v70                         // 000000012B1C: 7E88B546
	v_permlane32_swap_b32_e32 v69, v71                         // 000000012B20: 7E8AB547
	s_nop 1                                                    // 000000012B24: BF800001
	v_permlane16_swap_b32_e32 v64, v68                         // 000000012B28: 7E80B344
	v_permlane16_swap_b32_e32 v65, v69                         // 000000012B2C: 7E82B345
	v_permlane16_swap_b32_e32 v66, v70                         // 000000012B30: 7E84B346
	v_permlane16_swap_b32_e32 v67, v71                         // 000000012B34: 7E86B347
	ds_bpermute_b32 v32, v28, v64                              // 000000012B38: D87E0000 2000401C
	ds_bpermute_b32 v33, v28, v65                              // 000000012B40: D87E0000 2100411C
	ds_bpermute_b32 v34, v28, v66                              // 000000012B48: D87E0000 2200421C
	ds_bpermute_b32 v35, v28, v67                              // 000000012B50: D87E0000 2300431C
	ds_bpermute_b32 v36, v28, v68                              // 000000012B58: D87E0000 2400441C
	ds_bpermute_b32 v37, v28, v69                              // 000000012B60: D87E0000 2500451C
	ds_bpermute_b32 v38, v28, v70                              // 000000012B68: D87E0000 2600461C
	ds_bpermute_b32 v39, v28, v71                              // 000000012B70: D87E0000 2700471C
	s_waitcnt lgkmcnt(4)                                       // 000000012B78: BF8CC47F
	buffer_store_dwordx4 v[32:35], v7, s[88:91], 0 offen       // 000000012B7C: E07C1000 80162007
	s_mov_b32 s56, 64                                          // 000000012B84: BEB800C0
	v_add_u32_e32 v7, s56, v7                                  // 000000012B88: 680E0E38
	s_waitcnt lgkmcnt(0)                                       // 000000012B8C: BF8CC07F
	buffer_store_dwordx4 v[36:39], v8, s[88:91], 0 offen       // 000000012B90: E07C1000 80162408
	v_add_u32_e32 v8, s56, v8                                  // 000000012B98: 68101038

0000000000012b9c <label_10AA4>:
	s_mov_b32 s56, 32                                          // 000000012B9C: BEB800A0
	s_addk_i32 s85, 0x1                                        // 000000012BA0: B7550001
	s_cmp_lt_i32 s85, s86                                      // 000000012BA4: BF045655
	s_cbranch_scc1 label_00A4                                  // 000000012BA8: BF85BDFE

0000000000012bac <label_10AB4>:
	s_waitcnt vmcnt(0) expcnt(0) lgkmcnt(0)                    // 000000012BAC: BF8C0000
	s_endpgm                                                   // 000000012BB0: BF810000
